;; amdgpu-corpus repo=ROCm/Tensile kind=harvested arch=n/a opt=n/a

/******************************************/
/* Function Prefix                        */
/******************************************/



/******************************************/
/* Begin Kernel                           */
/******************************************/

// Component.Signature.SignatureDefault
.amdgcn_target "amdgcn-amd-amdhsa--gfx942"
.text
.protected Cijk_Ailk_Bljk_F8B8B8S_BH_MT256x256x64_MI16x16x32x1_SN_1LDSB1_APM1_AF0EM16_AF1EM16_AMAS3_ASGT3512_ASLT_ASEM128_BL1_BS1_CLR1_DTVA0_DTVB0_ETSP_EPS1_ELFLR4_EMLL0_FSSC10_FL0_GLVWA16_GLVWB4_GRCGA1_GRCGB1_GRVWn1_GSU1_GSUASB_GLS0_IU1_K1_LBSPPA2048_LBSPPB128_LPA64_LPB8_LRVW8_MIAV0_MKFGSU256_NTA0_NTB0_NTC3_NTD3_NEPBS0_NLCA1_NLCB1_ONLL1_PK0_PGR2_PLR3_PKA0_SIA3_SS1_SU4_SUM0_SUS128_SPO1_SRVW0_SSO4_SVW4_TSGRA0_TSGRB0_TT4_256_TLDS1_UMLDSA0_UMLDSB1_USFGROn1_VAW1_VSn1_VW4_VWB1_VFLRP1_WSGRA1_WSGRB0_WG64_4_1_WGM16
.globl Cijk_Ailk_Bljk_F8B8B8S_BH_MT256x256x64_MI16x16x32x1_SN_1LDSB1_APM1_AF0EM16_AF1EM16_AMAS3_ASGT3512_ASLT_ASEM128_BL1_BS1_CLR1_DTVA0_DTVB0_ETSP_EPS1_ELFLR4_EMLL0_FSSC10_FL0_GLVWA16_GLVWB4_GRCGA1_GRCGB1_GRVWn1_GSU1_GSUASB_GLS0_IU1_K1_LBSPPA2048_LBSPPB128_LPA64_LPB8_LRVW8_MIAV0_MKFGSU256_NTA0_NTB0_NTC3_NTD3_NEPBS0_NLCA1_NLCB1_ONLL1_PK0_PGR2_PLR3_PKA0_SIA3_SS1_SU4_SUM0_SUS128_SPO1_SRVW0_SSO4_SVW4_TSGRA0_TSGRB0_TT4_256_TLDS1_UMLDSA0_UMLDSB1_USFGROn1_VAW1_VSn1_VW4_VWB1_VFLRP1_WSGRA1_WSGRB0_WG64_4_1_WGM16
.p2align 8
.type Cijk_Ailk_Bljk_F8B8B8S_BH_MT256x256x64_MI16x16x32x1_SN_1LDSB1_APM1_AF0EM16_AF1EM16_AMAS3_ASGT3512_ASLT_ASEM128_BL1_BS1_CLR1_DTVA0_DTVB0_ETSP_EPS1_ELFLR4_EMLL0_FSSC10_FL0_GLVWA16_GLVWB4_GRCGA1_GRCGB1_GRVWn1_GSU1_GSUASB_GLS0_IU1_K1_LBSPPA2048_LBSPPB128_LPA64_LPB8_LRVW8_MIAV0_MKFGSU256_NTA0_NTB0_NTC3_NTD3_NEPBS0_NLCA1_NLCB1_ONLL1_PK0_PGR2_PLR3_PKA0_SIA3_SS1_SU4_SUM0_SUS128_SPO1_SRVW0_SSO4_SVW4_TSGRA0_TSGRB0_TT4_256_TLDS1_UMLDSA0_UMLDSB1_USFGROn1_VAW1_VSn1_VW4_VWB1_VFLRP1_WSGRA1_WSGRB0_WG64_4_1_WGM16,@function
.section .rodata,#alloc
.p2align 6
.amdhsa_kernel Cijk_Ailk_Bljk_F8B8B8S_BH_MT256x256x64_MI16x16x32x1_SN_1LDSB1_APM1_AF0EM16_AF1EM16_AMAS3_ASGT3512_ASLT_ASEM128_BL1_BS1_CLR1_DTVA0_DTVB0_ETSP_EPS1_ELFLR4_EMLL0_FSSC10_FL0_GLVWA16_GLVWB4_GRCGA1_GRCGB1_GRVWn1_GSU1_GSUASB_GLS0_IU1_K1_LBSPPA2048_LBSPPB128_LPA64_LPB8_LRVW8_MIAV0_MKFGSU256_NTA0_NTB0_NTC3_NTD3_NEPBS0_NLCA1_NLCB1_ONLL1_PK0_PGR2_PLR3_PKA0_SIA3_SS1_SU4_SUM0_SUS128_SPO1_SRVW0_SSO4_SVW4_TSGRA0_TSGRB0_TT4_256_TLDS1_UMLDSA0_UMLDSB1_USFGROn1_VAW1_VSn1_VW4_VWB1_VFLRP1_WSGRA1_WSGRB0_WG64_4_1_WGM16
  .amdhsa_user_sgpr_kernarg_segment_ptr 1
  .amdhsa_user_sgpr_kernarg_preload_offset 0
  .amdhsa_user_sgpr_kernarg_preload_length 0
  .amdhsa_user_sgpr_count 2
  .amdhsa_accum_offset 256 // accvgpr offset
  .amdhsa_next_free_vgpr 512 // vgprs
  .amdhsa_next_free_sgpr 85 // sgprs
  .amdhsa_group_segment_fixed_size 34304 // lds bytes
  .amdhsa_private_segment_fixed_size 0
  .amdhsa_system_sgpr_workgroup_id_x 1
  .amdhsa_system_sgpr_workgroup_id_y 1
  .amdhsa_system_sgpr_workgroup_id_z 1
  .amdhsa_system_vgpr_workitem_id 0
  .amdhsa_float_denorm_mode_32 3
  .amdhsa_float_denorm_mode_16_64 3
.end_amdhsa_kernel
.text

/******************************************/
/* Optimizations and Config:              */
/******************************************/
/* ThreadTile= 16 x 16 */
/* SubGroup= 16 x 16 */
/* VectorWidthA=4 */
/* VectorWidthB=1 */
/* GlobalLoadVectorWidthA=16, GlobalLoadVectorWidthB=4 */
/* DirectToLdsA=False */
/* DirectToLdsB=False */
/* UseSgprForGRO=1 */
.amdgpu_metadata
---
amdhsa.version:
  - 1
  - 1
amdhsa.target: amdgcn-amd-amdhsa--gfx942
amdhsa.kernels:
  - .name: Cijk_Ailk_Bljk_F8B8B8S_BH_MT256x256x64_MI16x16x32x1_SN_1LDSB1_APM1_AF0EM16_AF1EM16_AMAS3_ASGT3512_ASLT_ASEM128_BL1_BS1_CLR1_DTVA0_DTVB0_ETSP_EPS1_ELFLR4_EMLL0_FSSC10_FL0_GLVWA16_GLVWB4_GRCGA1_GRCGB1_GRVWn1_GSU1_GSUASB_GLS0_IU1_K1_LBSPPA2048_LBSPPB128_LPA64_LPB8_LRVW8_MIAV0_MKFGSU256_NTA0_NTB0_NTC3_NTD3_NEPBS0_NLCA1_NLCB1_ONLL1_PK0_PGR2_PLR3_PKA0_SIA3_SS1_SU4_SUM0_SUS128_SPO1_SRVW0_SSO4_SVW4_TSGRA0_TSGRB0_TT4_256_TLDS1_UMLDSA0_UMLDSB1_USFGROn1_VAW1_VSn1_VW4_VWB1_VFLRP1_WSGRA1_WSGRB0_WG64_4_1_WGM16
    .symbol: 'Cijk_Ailk_Bljk_F8B8B8S_BH_MT256x256x64_MI16x16x32x1_SN_1LDSB1_APM1_AF0EM16_AF1EM16_AMAS3_ASGT3512_ASLT_ASEM128_BL1_BS1_CLR1_DTVA0_DTVB0_ETSP_EPS1_ELFLR4_EMLL0_FSSC10_FL0_GLVWA16_GLVWB4_GRCGA1_GRCGB1_GRVWn1_GSU1_GSUASB_GLS0_IU1_K1_LBSPPA2048_LBSPPB128_LPA64_LPB8_LRVW8_MIAV0_MKFGSU256_NTA0_NTB0_NTC3_NTD3_NEPBS0_NLCA1_NLCB1_ONLL1_PK0_PGR2_PLR3_PKA0_SIA3_SS1_SU4_SUM0_SUS128_SPO1_SRVW0_SSO4_SVW4_TSGRA0_TSGRB0_TT4_256_TLDS1_UMLDSA0_UMLDSB1_USFGROn1_VAW1_VSn1_VW4_VWB1_VFLRP1_WSGRA1_WSGRB0_WG64_4_1_WGM16.kd'
    .language:                   OpenCL C
    .language_version:
      - 2
      - 0
    .args:
      - .name:            Tensor2dSizeA
        .size:            8
        .offset:          0
        .value_kind:      by_value
        .value_type:      u64
      - .name:            Tensor2dSizeB
        .size:            8
        .offset:          8
        .value_kind:      by_value
        .value_type:      u64
      - .name:            AddressD
        .size:            8
        .offset:          16
        .value_kind:      by_value
        .value_type:      u64
      - .name:            AddressC
        .size:            8
        .offset:          24
        .value_kind:      by_value
        .value_type:      u64
      - .name:            AddressA
        .size:            8
        .offset:          32
        .value_kind:      by_value
        .value_type:      u64
      - .name:            AddressB
        .size:            8
        .offset:          40
        .value_kind:      by_value
        .value_type:      u64
      - .name:            Alpha
        .size:            4
        .offset:          48
        .value_kind:      by_value
        .value_type:      u32
      - .name:            Beta
        .size:            4
        .offset:          52
        .value_kind:      by_value
        .value_type:      u32
      - .name:            StridesD
        .size:            8
        .offset:          56
        .value_kind:      by_value
        .value_type:      u64
      - .name:            StridesC
        .size:            8
        .offset:          64
        .value_kind:      by_value
        .value_type:      u64
      - .name:            StridesA
        .size:            8
        .offset:          72
        .value_kind:      by_value
        .value_type:      u64
      - .name:            StridesB
        .size:            8
        .offset:          80
        .value_kind:      by_value
        .value_type:      u64
      - .name:            SizesFree
        .size:            12
        .offset:          88
        .value_kind:      by_value
        .value_type:      u96
      - .name:            SizesSum
        .size:            4
        .offset:          100
        .value_kind:      by_value
        .value_type:      u32
      - .name:            OrigStaggerUIter
        .size:            4
        .offset:          104
        .value_kind:      by_value
        .value_type:      u32
      - .name:            NumWorkGroups0
        .size:            4
        .offset:          108
        .value_kind:      by_value
        .value_type:      u32
      - .name:            NumWorkGroups1
        .size:            4
        .offset:          112
        .value_kind:      by_value
        .value_type:      u32
      - .name:            NumFullBlocks
        .size:            4
        .offset:          116
        .value_kind:      by_value
        .value_type:      u32
      - .name:            WgmRemainder1
        .size:            4
        .offset:          120
        .value_kind:      by_value
        .value_type:      u32
      - .name:            MagicNumberWgmRemainder1
        .size:            4
        .offset:          124
        .value_kind:      by_value
        .value_type:      u32
    .group_segment_fixed_size:   34304
    .kernarg_segment_align:      8
    .kernarg_segment_size:       128
    .max_flat_workgroup_size:    256
    .private_segment_fixed_size: 0
    .sgpr_count:                 85
    .sgpr_spill_count:           0
    .vgpr_count:                 256
    .vgpr_spill_count:           0
    .wavefront_size:             64
...
.end_amdgpu_metadata
Cijk_Ailk_Bljk_F8B8B8S_BH_MT256x256x64_MI16x16x32x1_SN_1LDSB1_APM1_AF0EM16_AF1EM16_AMAS3_ASGT3512_ASLT_ASEM128_BL1_BS1_CLR1_DTVA0_DTVB0_ETSP_EPS1_ELFLR4_EMLL0_FSSC10_FL0_GLVWA16_GLVWB4_GRCGA1_GRCGB1_GRVWn1_GSU1_GSUASB_GLS0_IU1_K1_LBSPPA2048_LBSPPB128_LPA64_LPB8_LRVW8_MIAV0_MKFGSU256_NTA0_NTB0_NTC3_NTD3_NEPBS0_NLCA1_NLCB1_ONLL1_PK0_PGR2_PLR3_PKA0_SIA3_SS1_SU4_SUM0_SUS128_SPO1_SRVW0_SSO4_SVW4_TSGRA0_TSGRB0_TT4_256_TLDS1_UMLDSA0_UMLDSB1_USFGROn1_VAW1_VSn1_VW4_VWB1_VFLRP1_WSGRA1_WSGRB0_WG64_4_1_WGM16:

/******************************************/
/* Asm syntax workarounds                 */
/******************************************/
.macro _v_add_co_u32 dst:req, cc:req, src0:req, src1:req, dpp=
   v_add_co_u32 \dst, \cc, \src0, \src1 \dpp
.endm

.macro _v_add_u32 dst:req, src0:req, src1:req, dpp=
   v_add_u32 \dst, \src0, \src1 \dpp
.endm

.macro _v_add_i32 dst:req, src0:req, src1:req, dpp=
   v_add_i32 \dst, \src0, \src1 \dpp
.endm

.macro _v_addc_co_u32 dst:req, ccOut:req, src0:req, ccIn:req, src1:req, dpp=
   v_addc_co_u32 \dst, \ccOut, \src0, \ccIn, \src1 \dpp
.endm

.macro _v_sub_co_u32 dst:req, cc:req, src0:req, src1:req, dpp=
   v_sub_co_u32 \dst, \cc, \src0, \src1 \dpp
.endm

.macro _v_sub_u32 dst:req, src0:req, src1:req, dpp=
   v_sub_u32 \dst, \src0, \src1 \dpp
.endm

.macro _v_sub_i32 dst:req, src0:req, src1:req, dpp=
   v_sub_i32 \dst, \src0, \src1 \dpp
.endm

.macro _v_add_lshl_u32 dst:req, src0:req, src1:req, shiftCnt:req
    v_add_lshl_u32 \dst, \src0, \src1, \shiftCnt
.endm

.macro _v_lshl_add_u32 dst:req, src0:req, src1:req, shiftCnt:req
    v_lshl_add_u32 \dst, \src0, \src1, \shiftCnt
.endm

.macro _v_lshl_or_b32 dst:req, src0:req, shiftCnt:req, src1:req
    v_lshl_or_b32 \dst, \src0, \shiftCnt, \src1
.endm

.macro _v_dot2acc_f32_f16 dst, src0, src1
v_dot2c_f32_f16 \dst, \src0, \src1
.endm

.macro _v_cmpx_lt_i16 dst, src0, src1=
   v_cmpx_lt_i16 \dst, \src0, \src1 
.endm

.macro _v_cmpx_lt_i32 dst, src0, src1=
   v_cmpx_lt_i32 \dst, \src0, \src1 
.endm

.macro _v_cmpx_lt_i64 dst, src0, src1=
   v_cmpx_lt_i64 \dst, \src0, \src1 
.endm

.macro _v_cmpx_lt_u16 dst, src0, src1=
   v_cmpx_lt_u16 \dst, \src0, \src1 
.endm

.macro _v_cmpx_lt_u32 dst, src0, src1=
   v_cmpx_lt_u32 \dst, \src0, \src1 
.endm

.macro _v_cmpx_lt_u64 dst, src0, src1=
   v_cmpx_lt_u64 \dst, \src0, \src1 
.endm

.macro _v_cmpx_eq_i16 dst, src0, src1=
   v_cmpx_eq_i16 \dst, \src0, \src1 
.endm

.macro _v_cmpx_eq_i32 dst, src0, src1=
   v_cmpx_eq_i32 \dst, \src0, \src1 
.endm

.macro _v_cmpx_eq_i64 dst, src0, src1=
   v_cmpx_eq_i64 \dst, \src0, \src1 
.endm

.macro _v_cmpx_eq_u16 dst, src0, src1=
   v_cmpx_eq_u16 \dst, \src0, \src1 
.endm

.macro _v_cmpx_eq_u32 dst, src0, src1=
   v_cmpx_eq_u32 \dst, \src0, \src1 
.endm

.macro _v_cmpx_eq_u64 dst, src0, src1=
   v_cmpx_eq_u64 \dst, \src0, \src1 
.endm

.macro _v_cmpx_le_i16 dst, src0, src1=
   v_cmpx_le_i16 \dst, \src0, \src1 
.endm

.macro _v_cmpx_le_i32 dst, src0, src1=
   v_cmpx_le_i32 \dst, \src0, \src1 
.endm

.macro _v_cmpx_le_i64 dst, src0, src1=
   v_cmpx_le_i64 \dst, \src0, \src1 
.endm

.macro _v_cmpx_le_u16 dst, src0, src1=
   v_cmpx_le_u16 \dst, \src0, \src1 
.endm

.macro _v_cmpx_le_u32 dst, src0, src1=
   v_cmpx_le_u32 \dst, \src0, \src1 
.endm

.macro _v_cmpx_le_u64 dst, src0, src1=
   v_cmpx_le_u64 \dst, \src0, \src1 
.endm

.macro _v_cmpx_gt_i16 dst, src0, src1=
   v_cmpx_gt_i16 \dst, \src0, \src1 
.endm

.macro _v_cmpx_gt_i32 dst, src0, src1=
   v_cmpx_gt_i32 \dst, \src0, \src1 
.endm

.macro _v_cmpx_gt_i64 dst, src0, src1=
   v_cmpx_gt_i64 \dst, \src0, \src1 
.endm

.macro _v_cmpx_gt_u16 dst, src0, src1=
   v_cmpx_gt_u16 \dst, \src0, \src1 
.endm

.macro _v_cmpx_gt_u32 dst, src0, src1=
   v_cmpx_gt_u32 \dst, \src0, \src1 
.endm

.macro _v_cmpx_gt_u64 dst, src0, src1=
   v_cmpx_gt_u64 \dst, \src0, \src1 
.endm

.macro _v_cmpx_ne_i16 dst, src0, src1=
   v_cmpx_ne_i16 \dst, \src0, \src1 
.endm

.macro _v_cmpx_ne_i32 dst, src0, src1=
   v_cmpx_ne_i32 \dst, \src0, \src1 
.endm

.macro _v_cmpx_ne_i64 dst, src0, src1=
   v_cmpx_ne_i64 \dst, \src0, \src1 
.endm

.macro _v_cmpx_ne_u16 dst, src0, src1=
   v_cmpx_ne_u16 \dst, \src0, \src1 
.endm

.macro _v_cmpx_ne_u32 dst, src0, src1=
   v_cmpx_ne_u32 \dst, \src0, \src1 
.endm

.macro _v_cmpx_ne_u64 dst, src0, src1=
   v_cmpx_ne_u64 \dst, \src0, \src1 
.endm

.macro _v_cmpx_lg_i16 dst, src0, src1=
   v_cmpx_lg_i16 \dst, \src0, \src1 
.endm

.macro _v_cmpx_lg_i32 dst, src0, src1=
   v_cmpx_lg_i32 \dst, \src0, \src1 
.endm

.macro _v_cmpx_lg_i64 dst, src0, src1=
   v_cmpx_lg_i64 \dst, \src0, \src1 
.endm

.macro _v_cmpx_lg_u16 dst, src0, src1=
   v_cmpx_lg_u16 \dst, \src0, \src1 
.endm

.macro _v_cmpx_lg_u32 dst, src0, src1=
   v_cmpx_lg_u32 \dst, \src0, \src1 
.endm

.macro _v_cmpx_lg_u64 dst, src0, src1=
   v_cmpx_lg_u64 \dst, \src0, \src1 
.endm

.macro _v_cmpx_ge_i16 dst, src0, src1=
   v_cmpx_ge_i16 \dst, \src0, \src1 
.endm

.macro _v_cmpx_ge_i32 dst, src0, src1=
   v_cmpx_ge_i32 \dst, \src0, \src1 
.endm

.macro _v_cmpx_ge_i64 dst, src0, src1=
   v_cmpx_ge_i64 \dst, \src0, \src1 
.endm

.macro _v_cmpx_ge_u16 dst, src0, src1=
   v_cmpx_ge_u16 \dst, \src0, \src1 
.endm

.macro _v_cmpx_ge_u32 dst, src0, src1=
   v_cmpx_ge_u32 \dst, \src0, \src1 
.endm

.macro _v_cmpx_ge_u64 dst, src0, src1=
   v_cmpx_ge_u64 \dst, \src0, \src1 
.endm

.macro _v_cmpx_o_i16 dst, src0, src1=
   v_cmpx_o_i16 \dst, \src0, \src1 
.endm

.macro _v_cmpx_o_i32 dst, src0, src1=
   v_cmpx_o_i32 \dst, \src0, \src1 
.endm

.macro _v_cmpx_o_i64 dst, src0, src1=
   v_cmpx_o_i64 \dst, \src0, \src1 
.endm

.macro _v_cmpx_o_u16 dst, src0, src1=
   v_cmpx_o_u16 \dst, \src0, \src1 
.endm

.macro _v_cmpx_o_u32 dst, src0, src1=
   v_cmpx_o_u32 \dst, \src0, \src1 
.endm

.macro _v_cmpx_o_u64 dst, src0, src1=
   v_cmpx_o_u64 \dst, \src0, \src1 
.endm

.macro _v_cmpx_u_i16 dst, src0, src1=
   v_cmpx_u_i16 \dst, \src0, \src1 
.endm

.macro _v_cmpx_u_i32 dst, src0, src1=
   v_cmpx_u_i32 \dst, \src0, \src1 
.endm

.macro _v_cmpx_u_i64 dst, src0, src1=
   v_cmpx_u_i64 \dst, \src0, \src1 
.endm

.macro _v_cmpx_u_u16 dst, src0, src1=
   v_cmpx_u_u16 \dst, \src0, \src1 
.endm

.macro _v_cmpx_u_u32 dst, src0, src1=
   v_cmpx_u_u32 \dst, \src0, \src1 
.endm

.macro _v_cmpx_u_u64 dst, src0, src1=
   v_cmpx_u_u64 \dst, \src0, \src1 
.endm
.macro _v_mac_f32 c:req, a:req, b:req
    v_fmac_f32 \c, \a, \b
.endmacro

/* scale global load macros */
.macro _s_load_b32 dst base offset
    s_load_dword \dst \base \offset
.endm

.macro _s_load_b64 dst base offset
    s_load_dwordx2 \dst \base \offset
.endm

.macro _s_load_b128 dst base offset
    s_load_dwordx4 \dst \base \offset
.endm

.macro _s_load_b256 dst base offset
    s_load_dwordx8 \dst \base \offset
.endm

.macro _s_load_b512 dst base offset
    s_load_dwordx16 \dst \base \offset
.endm


/* ds operation macros */
.macro _ds_load_u8 dst src offset
    ds_read_u8 \dst \src \offset
.endm

.macro _ds_load_u8_d16_hi dst src offset
    ds_read_u8_d16_hi \dst \src \offset
.endm

.macro _ds_load_u16 dst src offset
    ds_read_u16 \dst \src \offset
.endm

.macro _ds_load_u16_d16_hi dst src offset
    ds_read_u16_d16_hi \dst \src \offset
.endm

.macro _ds_load_b32 dst src offset
    ds_read_b32 \dst \src \offset
.endm

.macro _ds_load_b64 dst src offset
    ds_read_b64 \dst \src \offset
.endm

.macro _ds_load_b128 dst src offset
    ds_read_b128 \dst \src \offset
.endm

.macro _ds_store_b8 dst src offset
    ds_write_b8 \dst \src \offset
.endm

.macro _ds_store_b8_d16_hi dst src offset
    ds_write_b8_d16_hi \dst \src \offset
.endm

.macro _ds_store_b16 dst src offset
    ds_write_b16 \dst \src \offset
.endm

.macro _ds_store_b16_d16_hi dst src offset
    ds_write_b16_d16_hi \dst \src \offset
.endm

.macro _ds_store_b32 dst src offset
    ds_write_b32 \dst \src \offset
.endm

.macro _ds_store_b64 dst src offset
    ds_write_b64 \dst \src \offset
.endm

.macro _ds_store_b128 dst src offset
    ds_write_b128 \dst \src \offset
.endm

.macro _ds_load2_b32 dst src offset1 offset2
    ds_read2_b32 \dst \src \offset1 \offset2
.endm

.macro _ds_load2_b64 dst src offset1 offset2
    ds_read2_b64 \dst \src \offset1 \offset2
.endm

.macro _ds_store2_b32 dst src offset1 offset2
    ds_write2_b32 \dst \src \offset1 \offset2
.endm

.macro _ds_store2_b64 dst src offset1 offset2
    ds_write2_b64 \dst \src \offset1 \offset2
.endm


/* buffer memory operation macros */
.macro _buffer_load_b32 dst voffset base soffset offen ioffset md0 md1 md2
    buffer_load_dword \dst \voffset \base \soffset \offen \ioffset \md0 \md1 \md2
.endm

.macro _buffer_load_b64 dst voffset base soffset offen ioffset md0 md1 md2
    buffer_load_dwordx2 \dst \voffset \base \soffset \offen \ioffset \md0 \md1 \md2
.endm

.macro _buffer_load_b96 dst voffset base soffset offen ioffset md0 md1 md2
    buffer_load_dwordx3 \dst \voffset \base \soffset \offen \ioffset \md0 \md1 \md2
.endm

.macro _buffer_load_b128 dst voffset base soffset offen ioffset md0 md1 md2
    buffer_load_dwordx4 \dst \voffset \base \soffset \offen \ioffset \md0 \md1 \md2
.endm

.macro _buffer_load_d16_b16 dst voffset base soffset offen ioffset md0 md1 md2
    buffer_load_short_d16 \dst \voffset \base \soffset \offen \ioffset \md0 \md1 \md2
.endm

.macro _buffer_load_d16_hi_b16 dst voffset base soffset offen ioffset md0 md1 md2
    buffer_load_short_d16_hi \dst \voffset \base \soffset \offen \ioffset \md0 \md1 \md2
.endm

.macro _buffer_load_d16_u8 dst voffset base soffset offen ioffset md0 md1 md2
    buffer_load_ubyte_d16 \dst \voffset \base \soffset \offen \ioffset \md0 \md1 \md2
.endm

.macro _buffer_load_d16_hi_u8 dst voffset base soffset offen ioffset md0 md1 md2
    buffer_load_ubyte_d16_hi \dst \voffset \base \soffset \offen \ioffset \md0 \md1 \md2
.endm

.macro _buffer_load_u16 dst voffset base soffset offen ioffset md0 md1 md2
    buffer_load_ushort \dst \voffset \base \soffset \offen \ioffset \md0 \md1 \md2
.endm

.macro _buffer_load_b32_dtl voffset base soffset offen ioffset md0 md1 md2
    buffer_load_dword \voffset \base \soffset \offen \ioffset \md0 \md1 \md2
.endm

.macro _buffer_load_b64_dtl voffset base soffset offen ioffset md0 md1 md2
    buffer_load_dwordx2 \voffset \base \soffset \offen \ioffset \md0 \md1 \md2
.endm

.macro _buffer_load_b128_dtl voffset base soffset offen ioffset md0 md1 md2
    buffer_load_dwordx4 \voffset \base \soffset \offen \ioffset \md0 \md1 \md2
.endm

.macro _buffer_load_u16_dtl voffset base soffset offen ioffset md0 md1 md2
    buffer_load_ushort \voffset \base \soffset \offen \ioffset \md0 \md1 \md2
.endm

.macro _buffer_store_b32 src voffset base soffset offen ioffset md0 md1 md2
    buffer_store_dword \src \voffset \base \soffset \offen \ioffset \md0 \md1 \md2
.endm

.macro _buffer_store_b64 src voffset base soffset offen ioffset md0 md1 md2
    buffer_store_dwordx2 \src \voffset \base \soffset \offen \ioffset \md0 \md1 \md2
.endm

.macro _buffer_store_b96 src voffset base soffset offen ioffset md0 md1 md2
    buffer_store_dwordx3 \src \voffset \base \soffset \offen \ioffset \md0 \md1 \md2
.endm

.macro _buffer_store_b128 src voffset base soffset offen ioffset md0 md1 md2
    buffer_store_dwordx4 \src \voffset \base \soffset \offen \ioffset \md0 \md1 \md2
.endm

.macro _buffer_store_b16 src voffset base soffset offen ioffset md0 md1 md2
    buffer_store_short \src \voffset \base \soffset \offen \ioffset \md0 \md1 \md2
.endm

.macro _buffer_store_d16_hi_b16 src voffset base soffset offen ioffset md0 md1 md2
    buffer_store_short_d16_hi \src \voffset \base \soffset \offen \ioffset \md0 \md1 \md2
.endm

.macro _buffer_store_b8 src voffset base soffset offen ioffset md0 md1 md2
    buffer_store_byte \src \voffset \base \soffset \offen \ioffset \md0 \md1 \md2
.endm

.macro _buffer_store_d16_hi_b8 src voffset base soffset offen ioffset md0 md1 md2
    buffer_store_byte_d16_hi \src \voffset \base \soffset \offen \ioffset \md0 \md1 \md2
.endm

.macro _buffer_atomic_cmpswap_b32 dst voffset base soffset offen ioffset md0 md1 md2
    buffer_atomic_cmpswap \dst \voffset \base \soffset \offen \ioffset \md0 \md1 \md2
.endm

.macro _buffer_atomic_cmpswap_b64 dst voffset base soffset offen ioffset md0 md1 md2
    buffer_atomic_cmpswap_x2 \dst \voffset \base \soffset \offen \ioffset \md0 \md1 \md2
.endm


/* buffer memory operation macros */
.macro _global_load_b32 dst base src ioffset md0 md1 md2
    global_load_dword \dst \base \src \ioffset \md0 \md1 \md2
.endm

.macro _global_load_b64 dst base src ioffset md0 md1 md2
    global_load_dwordx2 \dst \base \src \ioffset \md0 \md1 \md2
.endm

.macro _global_load_b96 dst base src ioffset md0 md1 md2
    global_load_dwordx3 \dst \base \src \ioffset \md0 \md1 \md2
.endm

.macro _global_load_b128 dst base src ioffset md0 md1 md2
    global_load_dwordx4 \dst \base \src \ioffset \md0 \md1 \md2
.endm

.macro _global_load_d16_b16 dst base src ioffset md0 md1 md2
    global_load_short_d16 \dst \base \src \ioffset \md0 \md1 \md2
.endm

.macro _global_load_d16_hi_b16 dst base src ioffset md0 md1 md2
    global_load_short_d16_hi \dst \base \src \ioffset \md0 \md1 \md2
.endm

.macro _global_load_d16_u8 dst base src ioffset md0 md1 md2
    global_load_ubyte_d16 \dst \base \src \ioffset \md0 \md1 \md2
.endm

.macro _global_load_d16_hi_u8 dst base src ioffset md0 md1 md2
    global_load_ubyte_d16_hi \dst \base \src \ioffset \md0 \md1 \md2
.endm

.macro _global_load_u16 dst base src ioffset md0 md1 md2
    global_load_ushort \dst \base \src \ioffset \md0 \md1 \md2
.endm

.macro _global_store_b32 base src src2 md0 md1 md2
    global_store_dword \base \src \src2 \md0 \md1 \md2
.endm

.macro _global_store_b64 base src src2 md0 md1 md2
    global_store_dwordx2 \base \src \src2 \md0 \md1 \md2
.endm

.macro _global_store_b96 base src src2 md0 md1 md2
    global_store_dwordx3 \base \src \src2 \md0 \md1 \md2
.endm

.macro _global_store_b128 base src src2 md0 md1 md2
    global_store_dwordx4 \base \src \src2 \md0 \md1 \md2
.endm

.macro _global_store_d16_b16 base src src2 md0 md1 md2
    global_store_short \base \src \src2 \md0 \md1 \md2
.endm

.macro _global_store_d16_hi_b16 base src src2 md0 md1 md2
    global_store_short_d16_hi \base \src \src2 \md0 \md1 \md2
.endm

.macro _global_store_d16_u8 base src src2 md0 md1 md2
    global_store_ubyte_d16 \base \src \src2 \md0 \md1 \md2
.endm

.macro _global_store_d16_hi_u8 base src src2 md0 md1 md2
    global_store_ubyte_d16_hi \base \src \src2 \md0 \md1 \md2
.endm

.macro _global_store_u16 base src src2 md0 md1 md2
    global_store_ushort \base \src \src2 \md0 \md1 \md2
.endm

.macro _global_atomic_cmpswap_b32 tmp base data src ioffset md
    global_atomic_cmpswap \tmp \base \data \src \ioffset \md
.endm

.macro _global_atomic_cmpswap_b64 tmp base data src ioffset md
    global_atomic_cmpswap_x2 \tmp \base \data \src \ioffset \md
.endm


/******************************************/
/* Magic div and mod functions            */
/******************************************/
.macro V_MAGIC_DIV dstIdx:req, dividend:req, magicNumber:req, magicShift:req, magicA:req
    v_mul_hi_u32 v[\dstIdx+1], \dividend, \magicNumber
    v_mul_lo_u32 v[\dstIdx+0], \dividend, \magicA
    _v_add_u32 v[\dstIdx+0], v[\dstIdx+0], v[\dstIdx+1]
    v_lshrrev_b32 v[\dstIdx+0], \magicShift, v[\dstIdx+0]
.endm

/******************************************/
/* VGPR Assignments                       */
/******************************************/
/* ValuC range: [0-0), serializedStore enabled */
.set vgprValuC, 0
/* ValuA/B   Xn=PLR buffer idx,  In=InnerUnroll idx */
.set vgprValuA_X0_I0, 0
.set vgprValuA_X1_I0, 0
.set vgprValuA_X0_I0_D0, 8
.set vgprValuA_X0_I0_D1, 9
.set vgprValuA_X0_I0_D2, 10
.set vgprValuA_X0_I0_D3, 11
.set vgprValuA_X0_I0_D4, 12
.set vgprValuA_X0_I0_D5, 13
.set vgprValuA_X0_I0_D6, 14
.set vgprValuA_X0_I0_D7, 15
.set vgprValuA_X1_I0_D0, 16
.set vgprValuA_X1_I0_D1, 17
.set vgprValuA_X1_I0_D2, 18
.set vgprValuA_X1_I0_D3, 19
.set vgprValuA_X1_I0_D4, 20
.set vgprValuA_X1_I0_D5, 21
.set vgprValuA_X1_I0_D6, 22
.set vgprValuA_X1_I0_D7, 23
.set vgprG2LA, 92
.set vgprValuB_X0_I0, 24
.set vgprValuB_X1_I0, 56
.set vgprG2LB, 108
.set vgprLocalWriteAddrA, 88
.set vgprLocalWriteAddrB, 89
.set vgprGlobalReadOffsetA, 90
.set vgprGlobalReadOffsetB, 91
.set vgprLocalReadAddrA, 124
.set vgprLocalReadAddrB, 125
.set vgprPackTemp, 126
.set vgprSerial, 127
/* Num VGPR=256 */
/* Num AccVGPR=256 */

/******************************************/
/* SGPR Assignments                       */
/******************************************/
.set sgprKernArgAddress, 0 // (2)
.set sgprWorkGroup0, 2 // (1)
.set sgprWorkGroup1, 3 // (1)
.set sgprWorkGroup2, 4 // (1)
.set sgprLoopCounterL, 5 // (1)
.set sgprOrigLoopCounter, 6 // (1)
.set sgprSrdA, 8 // (4)
.set sgprSrdB, 12 // (4)
.set sgprSrdD, 16 // (4)
.set sgprSrdC, 20 // (4)
.set sgprTensor2dSizeA, 24 // (2)
.set sgprTensor2dSizeB, 26 // (2)
.set sgprAddressD, 28 // (2)
.set sgprAddressC, 30 // (2)
.set sgprAddressA, 32 // (2)
.set sgprAddressB, 34 // (2)
.set sgprAlpha, 36 // (1)
.set sgprBeta, 37 // (1)
.set sgprStridesD, 38 // (2)
.set sgprStridesC, 40 // (2)
.set sgprStridesA, 42 // (2)
.set sgprStridesB, 44 // (2)
.set sgprSizesFree, 46 // (3)
.set sgprSizesSum, 49 // (1)
.set sgprOrigStaggerUIter, 50 // (1)
.set sgprNumWorkGroups0, 51 // (1)
.set sgprNumWorkGroups1, 52 // (1)
.set sgprNumFullBlocks, 53 // (1)
.set sgprWgmRemainder1, 54 // (1)
.set sgprMagicNumberWgmRemainder1, 55 // (1)
.set sgprShadowLimitA, 0 // (2)
.set sgprShadowLimitB, 28 // (2)
.set sgprStaggerUIter, 7 // (1)
.set sgprWrapUA, 30 // (2)
.set sgprWrapUB, 32 // (2)
.set sgprGlobalReadIncsA, 34 // (1)
.set sgprGlobalReadIncsB, 35 // (1)
.set sgprPackKForV0, 58 // (1)
.set sgprPackKForV1, 59 // (1)
.set sgprPackKForV2, 60 // (1)
.set sgprPackKForV3, 61 // (1)
.set sgprScalarGlobalReadOffsetA, 62 // (3)
.set sgprScalarGlobalReadOffsetB, 65 // (15)
/* max SGPR=85 */

/* Size Assignments */
.set sgprSizeI, sgprSizesFree+0
.set sgprSizeJ, sgprSizesFree+1
.set sgprSizeK, sgprSizesFree+2
.set sgprSizeL, sgprSizesSum+0

/* Stride Assignments */
.set constStrideD0I, 1
.set sgprStrideD1J, sgprStridesD+0
.set sgprStrideDK, sgprStridesD+1
.set constStrideC0I, 1
.set sgprStrideC1J, sgprStridesC+0
.set sgprStrideCK, sgprStridesC+1
.set constStrideA0I, 1
.set sgprStrideAL, sgprStridesA+0
.set sgprStrideAK, sgprStridesA+1
.set constStrideBL, 1
.set sgprStrideB1J, sgprStridesB+0
.set sgprStrideBK, sgprStridesB+1

.set MT0, 256
.set MT1, 256
.set DepthU, 64
.set GSU, 1
.set BpeA, 1
.set BpeALog2, 0
.set BpeB, 1
.set BpeBLog2, 0
/* Number of elements to shift-left SRD */
.set SrdShiftLeftA, 16
.set SrdShiftLeftB, 4
/* 2GB limit - set offsets to -1 to exceed this and clamp */
.set BufferLimitA, 0xffffffff
.set BufferLimitB, 0xffffffff
.set BufferOOB, 0xfffff000

/******************************************/
/* Bits 127:96 of SRD.                    */
/* hex: 0x00020000                        */
/* dst_sel_x (3b): 0                      */
/* dst_sel_y (3b): 0                      */
/* dst_sel_z (3b): 0                      */
/* dst_sel_w (3b): 0                      */
/* num_format (3b): 0                     */
/* data_format (4b): 4                    */
/* user_vm_enable (1b): 0                 */
/* user_vm_mode (1b): 0                   */
/* index_stride (2b): 0                   */
/* add_tid_enable (1b): 0                 */
/* _unusedA (3b): 0                       */
/* nv (1b): 0                             */
/* _unusedB (2b): 0                       */
/* type (2b): 0                           */
/******************************************/
.set Srd127_96, 0x00020000

/* Global Offset A */
.macro GLOBAL_OFFSET_A vgprAddr:req vgprOffset0I:req vgprOffsetL:req vgprTmp:req
v_mul_lo_u32 v[\vgprTmp+0], s[sgprStrideAL], v[\vgprOffsetL] // mul d1 lower
_v_add_co_u32 v[\vgprAddr+0], vcc, v[\vgprOffset0I], v[\vgprTmp+0] // accumulate K lower
_v_add_u32 v[\vgprAddr+0], 0x10, v[\vgprAddr+0]    // add prepad for pointer shift
                                                   // offset *= bytes/element (multiplier is 1, do nothing)
.endm

/* Global Offset B */
.macro GLOBAL_OFFSET_B vgprAddr:req vgprOffsetL:req vgprOffset1J:req vgprTmp:req
v_mul_lo_u32 v[\vgprTmp+0], s[sgprStrideB1J], v[\vgprOffset1J] // mul d1 lower
_v_add_co_u32 v[\vgprAddr+0], vcc, v[\vgprOffsetL], v[\vgprTmp+0] // accumulate K lower
_v_add_u32 v[\vgprAddr+0], 0x4, v[\vgprAddr+0]     // add prepad for pointer shift
                                                   // offset *= bytes/element (multiplier is 1, do nothing)
.endm

/******************************************/
/* Dynamic Scalar Divide: vQuotient=vDividend/vDivisor; vRemainder=vDividend%vDivisor; */
/******************************************/
.macro DYNAMIC_VECTOR_DIVIDE vQuotient vRemainder vDividend vDivisor vTmp0 vTmp1 sTmp
v_cvt_f32_u32 v[\vQuotient], v[\vDivisor]          // 
v_rcp_f32 v[\vQuotient], v[\vQuotient]             // 
v_mul_f32 v[\vQuotient], 0x4f800000, v[\vQuotient] // 
v_cvt_u32_f32 v[\vQuotient], v[\vQuotient]         // 
v_mul_lo_u32 v[\vRemainder], v[\vDivisor], v[\vQuotient] // 
v_mul_hi_u32 v[\vTmp0], v[\vDivisor], v[\vQuotient] // 
_v_sub_co_u32 v[\vTmp1], vcc, 0x0, v[\vRemainder]  // 
v_cmp_ne_i32 s[\sTmp:\sTmp+1], 0x0, v[\vTmp0]      // 
v_cndmask_b32 v[\vRemainder], v[\vTmp1], v[\vRemainder], s[\sTmp:\sTmp+1] // 
v_mul_hi_u32 v[\vRemainder], v[\vRemainder], v[\vQuotient] // 
_v_sub_co_u32 v[\vTmp0], vcc, v[\vQuotient], v[\vRemainder] // 
_v_add_co_u32 v[\vQuotient], vcc, v[\vQuotient], v[\vRemainder] // 
v_cndmask_b32 v[\vQuotient], v[\vQuotient], v[\vTmp0], s[\sTmp:\sTmp+1] // 
v_mul_hi_u32 v[\vQuotient], v[\vQuotient], v[\vDividend] // 
v_mul_lo_u32 v[\vRemainder], v[\vQuotient], v[\vDivisor] // 
_v_sub_co_u32 v[\vTmp0], vcc, v[\vDividend], v[\vRemainder] // 
v_cmp_ge_u32 s[\sTmp:\sTmp+1], v[\vDividend], v[\vRemainder] // 
_v_add_co_u32 v[\vRemainder], vcc, 0x1, v[\vQuotient] // 
_v_add_co_u32 v[\vTmp1], vcc, -1, v[\vQuotient]    // 
v_cmp_le_u32 vcc, v[\vDivisor], v[\vTmp0]          // 
s_and_b64 vcc, s[\sTmp:\sTmp+1], vcc               // 
v_cndmask_b32 v[\vQuotient], v[\vQuotient], v[\vRemainder], vcc // 
v_cndmask_b32 v[\vQuotient], v[\vTmp1], v[\vQuotient], s[\sTmp:\sTmp+1] // 
v_cmp_ne_i32 vcc, 0x0, v[\vDivisor]                // 
v_cndmask_b32 v[\vQuotient], -1, v[\vQuotient], vcc // final result
v_mul_lo_u32 v[\vRemainder], v[\vQuotient], v[\vDivisor] // 
_v_sub_co_u32 v[\vRemainder], vcc, v[\vDividend], v[\vRemainder] // final result
.endm


	;; [unrolled: 1-line block ×3, first 2 shown]
/******************************************/
/* Allocate Resources                     */
/******************************************/

Cijk_Ailk_Bljk_F8B8B8S_BH_MT256x256x64_MI16x16x32x1_SN_1LDSB1_APM1_AF0EM16_AF1EM16_AMAS3_ASGT3512_ASLT_ASEM128_BL1_BS1_CLR1_DTVA0_DTVB0_ETSP_EPS1_ELFLR4_EMLL0_FSSC10_FL0_GLVWA16_GLVWB4_GRCGA1_GRCGB1_GRVWn1_GSU1_GSUASB_GLS0_IU1_K1_LBSPPA2048_LBSPPB128_LPA64_LPB8_LRVW8_MIAV0_MKFGSU256_NTA0_NTB0_NTC3_NTD3_NEPBS0_NLCA1_NLCB1_ONLL1_PK0_PGR2_PLR3_PKA0_SIA3_SS1_SU4_SUM0_SUS128_SPO1_SRVW0_SSO4_SVW4_TSGRA0_TSGRB0_TT4_256_TLDS1_UMLDSA0_UMLDSB1_USFGROn1_VAW1_VSn1_VW4_VWB1_VFLRP1_WSGRA1_WSGRB0_WG64_4_1_WGM16_preloaded: // Kernel start when preloading
s_setprio 3                                        // optimization store

/* Load Kernel Args */
_s_load_b512 s[24:39], s[sgprKernArgAddress:sgprKernArgAddress+1], 0x0 // 
_s_load_b512 s[40:55], s[sgprKernArgAddress:sgprKernArgAddress+1], 0x40 // 
s_mov_b32 m0, 0x8600                               // LDS clamp at 34304 bytes
v_mov_b32 v[vgprSerial], v0                        // thread serial id

/******************************************/
/* Local Read Addresses                   */
/******************************************/


/* local read addresses: tile assignments a/b */

/*lr0I*/
v_and_b32 v1, 63, v[vgprSerial]                    // 0. thread id in wave: wtid = tid % wavelength(64)
v_and_b32 v0, 15, v1                               // 1. N offset: nIdx = wtid % MI_N(16)
                                                   // 1. N offset: nOffset = nIdx * nStride(1) (multiplier is 1, do nothing)
                                                   // 2. block offset: bnIdx = bnIdx % num1DBlocks(1) is 0. do nothing
v_lshlrev_b32 v0, 0x2, v0                          // 4. apply VectorWidth: bnOffset = bnOffset * vw(4)
v_lshrrev_b32 v1, 4, v1                            // 5. K offset: kIdx = wtid / (MIN(16) * MIBB(1))
v_lshlrev_b32 v1, 0xb, v1                          // 5. K offset: lrKOffset = kIdx * mStride(2048)
_v_add_u32 v0, v1, v0                              // 6. offset in wave: lrOffset = bnOffset + lrKOffset
v_lshrrev_b32 v2, 6, v[vgprSerial]                 // 7. wave offset in N dimen: wtid = tid / dividedForWaveId(64)
v_and_b32 v1, 3, v2                                // 7. wave offset in M dimen: wtid0 = wtid / num1DWaves(4)
v_lshlrev_b32 v1, 0x6, v1                          // 7. wave offset in M dimen: wOffset = wtid0 * W0Stride(64)
_v_add_u32 v0, v1, v0                              // 8. final local read offset: flrOffset = lrOffset + WOffset
/*lr1J*/
v_and_b32 v2, 63, v[vgprSerial]                    // 0. thread id in wave: wtid = tid % wavelength(64)
v_and_b32 v1, 15, v2                               // 1. N offset: nIdx = wtid % MI_N(16)
v_lshlrev_b32 v1, 0x6, v1                          // 1. N offset: nOffset = nIdx * nStride(64)
                                                   // 2. block offset: bnIdx = bnIdx % num1DBlocks(1) is 0. do nothing
                                                   // 4. apply VectorWidth: bnOffset = bnOffset * vw(1) (multiplier is 1, do nothing)
v_lshrrev_b32 v2, 4, v2                            // 5. K offset: kIdx = wtid / (MIN(16) * MIBB(1))
v_lshlrev_b32 v2, 0x3, v2                          // 5. K offset: lrKOffset = kIdx * mStride(8)
_v_add_u32 v1, v2, v1                              // 6. offset in wave: lrOffset = bnOffset + lrKOffset


/* local read addresses: final offsets a */

v_lshlrev_b32 v[vgprLocalReadAddrA], 0x0, v0       // Final Offset: offset = (lro0)*bpe
v_lshrrev_b32 v0, 11, v[vgprLocalReadAddrA]        // Final Offset: padding 64 per block 2048
v_lshlrev_b32 v0, 0x6, v0                          // Final Offset: padding 64 per block 2048
_v_add_u32 v[vgprLocalReadAddrA], v0, v[vgprLocalReadAddrA] // Final Offset: add padding 64 per block 2048


/* local read addresses: final offsets b */

v_lshlrev_b32 v[vgprLocalReadAddrB], 0x0, v1       // Final Offset: offset = (lro1)*bpe
v_lshrrev_b32 v0, 7, v[vgprLocalReadAddrB]         // Final Offset: padding 8 per block 128
v_lshlrev_b32 v0, 0x3, v0                          // Final Offset: padding 8 per block 128
_v_add_u32 v[vgprLocalReadAddrB], v0, v[vgprLocalReadAddrB] // Final Offset: add padding 8 per block 128


/* local read addresses: declare addresses a */

/* N/A */


/* local read addresses: declare addresses b */

_v_add_co_u32 v[vgprLocalReadAddrB+0], vcc, 0x4200, v[vgprLocalReadAddrB+0] //  += LdsOffsetB (lower)


/* global read addresses: tile offset assignment a */

/* LVCA = 16 */
/* v0 = (local)groA-tile = serial%LVCA (note (wgA*MTA) will be added to SRD) */
/* v1 = groA-unroll = serial/LVCA */
v_and_b32 v2, 63, v[vgprSerial]                    // v2 = v[vgprSerial] % 64
v_lshrrev_b32 v1, 4, v2                            // v1 = v2 / 16
v_and_b32 v0, 15, v2                               // v0 = v2 % 16
v_readfirstlane_b32 s56, v[vgprSerial]             // WaveIdxWavefrontWidth
s_lshr_b32 s56, s56, 0x6                           // WaveId
s_mul_i32 s56, s56, 16                             // Global Read Wave: each wave loads continuous lsp(4)*nrp(4) columns
_v_add_u32 v1, s56, v1                             // Global Read Wave: add back to column index
/* gro-tile *= glvw */
v_lshlrev_b32 v0, 0x4, v0                          // v0 = v0 * 16


/* global read addresses: tile offset assignment b */

/* LVCB = 16 */
/* v2 = (local)groB-tile = serial/LVCB (note (wgB*MTB) will be added to SRD) */
/* v3 = groB-unroll = serial%LVCB */
v_lshrrev_b32 v2, 4, v[vgprSerial]                 // v2 = v[vgprSerial] / 16
v_and_b32 v3, 15, v[vgprSerial]                    // v3 = v[vgprSerial] % 16
/* gro-unroll *= glvw */
v_lshlrev_b32 v3, 0x2, v3                          // v3 = v3 * 4


/******************************************/
/* Local Write Addresses                  */
/******************************************/

/* lwaTileAssignmentA = v0 */

/* lwaTileAssignmentB = v2 */

/* lwaUnrollAssignmentA = v1 */

/* lwaUnrollAssignmentB = v3 */


/* local write addresses: first offset a */

v_mul_u32_u24 v[vgprLocalWriteAddrA], 0x100, v1    // lwAL**(MTA + PAD)
_v_add_lshl_u32 v[vgprLocalWriteAddrA], v0, v[vgprLocalWriteAddrA], 0x0 // lwFOA = (lwAA + lwAL*(MT0I+PAD))*bpe
v_lshrrev_b32 v4, 11, v[vgprLocalWriteAddrA]       // padding 64 per block 2048
v_lshlrev_b32 v4, 0x6, v4                          // padding 64 per block 2048
_v_add_u32 v[vgprLocalWriteAddrA], v4, v[vgprLocalWriteAddrA] // add padding 64 per block 2048


/* local write addresses: first offset b */

v_mul_u32_u24 v[vgprLocalWriteAddrB], 0x40, v2     // lwBL**(DepthU_Compute + PAD)
_v_add_lshl_u32 v[vgprLocalWriteAddrB], v3, v[vgprLocalWriteAddrB], 0x0 // lwFOB = (lwBB + lwBL*(DepthU+PAD))*bpe
v_lshrrev_b32 v4, 7, v[vgprLocalWriteAddrB]        // padding 8 per block 128
v_lshlrev_b32 v4, 0x3, v4                          // padding 8 per block 128
_v_add_u32 v[vgprLocalWriteAddrB], v4, v[vgprLocalWriteAddrB] // add padding 8 per block 128
_v_add_co_u32 v[vgprLocalWriteAddrB], vcc, 0x4200, v[vgprLocalWriteAddrB] // lwFOB = lwB1J + lwBL*MT1J + LDS_OFFSET_B=16896*1


	;; [unrolled: 1-line block ×7, first 2 shown]
s_waitcnt lgkmcnt(0)                               // wait for 128 bytes of kern args
s_mov_b64 s[sgprSrdC+0:sgprSrdC+0+1], s[sgprAddressC+0:sgprAddressC+0+1] // copy addressC
s_mov_b64 s[sgprSrdD+0:sgprSrdD+0+1], s[sgprAddressD+0:sgprAddressD+0+1] // copy addressD
s_sub_u32 s[sgprSrdA+0], s[sgprAddressA+0], 16     // pre-pad to make room for possible pointer shift
s_subb_u32 s[sgprSrdA+1], s[sgprAddressA+1], 0     // pre-pad to make room for possible pointer shift
s_sub_u32 s[sgprSrdB+0], s[sgprAddressB+0], 4      // pre-pad to make room for possible pointer shift
s_subb_u32 s[sgprSrdB+1], s[sgprAddressB+1], 0     // pre-pad to make room for possible pointer shift

.set AddressD, UNDEF
.set AddressC, UNDEF
.set AddressA, UNDEF
.set AddressB, UNDEF

/* Short circuit condition if Alpha == 0, then sumDims=0 */
v_cmp_eq_f32 vcc, s[sgprAlpha], 0.0                // Alpha == 0.0f ?
s_cbranch_vccz label_AlphaNonZero                  // branch if alpha != 0
s_mov_b32 s[sgprSizesSum+0], 0x0                   // Set summation dim=0 if Alpha == 0
label_AlphaNonZero:
s_mov_b32 s[sgprPackKForV0], 0x0c0c0400            // byte pack value 0 for v_perm_b32
s_mov_b32 s[sgprPackKForV1], 0x0c0c0501            // byte pack value 1 for v_perm_b32
s_mov_b32 s[sgprPackKForV2], 0x0c0c0602            // byte pack value 2 for v_perm_b32
s_mov_b32 s[sgprPackKForV3], 0x0c0c0703            // byte pack value 3 for v_perm_b32


	;; [unrolled: 1-line block ×3, first 2 shown]
/******************************************/
/* Begin setupNewTile, isPap=False           */
/******************************************/


/* global read addresses: work-group */

/* graWorkGroup mapping */
s_mov_b32 s83, 0x8000001L                          // magic number for WGM==16
s_mul_hi_u32 s81, s[sgprWorkGroup1], s83           // s_magic mul
s_mul_i32 s80, s[sgprWorkGroup1], s83              // s_magic mul
s_lshr_b64 s[80:81], s[80:81], 31                  // sMagicDiv
s_mul_i32 s81, s80, 16                             // quotient * non-magic divisor
s_sub_u32 s81, s[sgprWorkGroup1], s81              // WorkGroup1=remainder
s_mul_i32 s81, s81, s[sgprNumWorkGroups0]          // (wg1 % WGM)*nwg0
s_add_u32 s81, s81, s[sgprWorkGroup0]              // wgSerial = wg0 + (wg1 % WGM)*nwg1
s_cmp_ge_u32 s80, s[sgprNumFullBlocks]             // blockId >= numFullBlocks ?
s_cmov_b32 s83, s[sgprMagicNumberWgmRemainder1]    // 
s_cselect_b32 s82, s[sgprWgmRemainder1], 16        // 
s_mul_hi_u32 s3, s81, s83                          // s_magic mul
s_mul_i32 s2, s81, s83                             // s_magic mul
s_lshr_b64 s[2:3], s[2:3], 31                      // sMagicDiv
s_mul_i32 s[sgprWorkGroup1], s[sgprWorkGroup0], s82 // quotient * non-magic divisor
s_sub_u32 s[sgprWorkGroup1], s81, s[sgprWorkGroup1] // WorkGroup1=remainder
s_mul_i32 s80, s80, 16                             // blockId * WGM
s_add_u32 s[sgprWorkGroup1], s[sgprWorkGroup1], s80 // wg1 += blockId * WGM


/* global read addresses: unroll assignment a */

/* v1 */


/* global read addresses: unroll assignment b */

/* v3 */


/* global read addresses: other free assignments */

/* s[sgprWorkGroup2] */


/* global read addresses: tile offsets a */


	;; [unrolled: 1-line block ×3, first 2 shown]
/* global read addresses: tile offsets b */


	;; [unrolled: 1-line block ×3, first 2 shown]
/* global read addresses: unroll offsets a */


	;; [unrolled: 1-line block ×3, first 2 shown]
/* global read addresses: unroll offsets b */


	;; [unrolled: 1-line block ×3, first 2 shown]
/* global read addresses: final offsets a */

GLOBAL_OFFSET_A vgprGlobalReadOffsetA+0,  0,  1, 4 // gROA_0_0_0_0
s_mul_i32 s[sgprScalarGlobalReadOffsetA+0], s[sgprStrideAL], 4 // compute offset diff (scaled unrollDim)
s_lshl_b32 s[sgprScalarGlobalReadOffsetA+0], s[sgprScalarGlobalReadOffsetA+0], 0x0 // scalar offset *= bytes/element
s_mul_i32 s[sgprScalarGlobalReadOffsetA+1], s[sgprStrideAL], 8 // compute offset diff (scaled unrollDim)
s_lshl_b32 s[sgprScalarGlobalReadOffsetA+1], s[sgprScalarGlobalReadOffsetA+1], 0x0 // scalar offset *= bytes/element
s_mul_i32 s[sgprScalarGlobalReadOffsetA+2], s[sgprStrideAL], 12 // compute offset diff (scaled unrollDim)
s_lshl_b32 s[sgprScalarGlobalReadOffsetA+2], s[sgprScalarGlobalReadOffsetA+2], 0x0 // scalar offset *= bytes/element


/* global read addresses: final offsets b */

GLOBAL_OFFSET_B vgprGlobalReadOffsetB+0,  3,  2, 4 // gROB_0_0_0_0
s_mul_i32 s[sgprScalarGlobalReadOffsetB+0], s[sgprStrideB1J], 16 // compute offset diff (scaled tileDim)
s_lshl_b32 s[sgprScalarGlobalReadOffsetB+0], s[sgprScalarGlobalReadOffsetB+0], 0x0 // scalar offset *= bytes/element
s_mul_i32 s[sgprScalarGlobalReadOffsetB+1], s[sgprStrideB1J], 32 // compute offset diff (scaled tileDim)
s_lshl_b32 s[sgprScalarGlobalReadOffsetB+1], s[sgprScalarGlobalReadOffsetB+1], 0x0 // scalar offset *= bytes/element
	;; [unrolled: 2-line block ×15, first 2 shown]


/* global read addresses: addresses a */

/* max read offset = size[n] * stride[n-1] */
s_mul_hi_u32 s83, s[sgprWorkGroup0], 256           // WorkGroup[01] * MT
s_mul_i32 s82, s[sgprWorkGroup0], 256              // WorkGroup[01] * MT
s_sub_u32 s[sgprShadowLimitA+0], s[sgprTensor2dSizeA], s82 // sub tileStart
s_subb_u32 s[sgprShadowLimitA+1], s[sgprTensor2dSizeA+1], s83 // sub tileStart
s_lshl_b64 s[sgprShadowLimitA:sgprShadowLimitA+1], s[sgprShadowLimitA:sgprShadowLimitA+1], 0x0 // Set limit to use bytes
s_add_u32 s[sgprShadowLimitA+0], s[sgprShadowLimitA+0], 16 // extend limit for pre-pad
s_addc_u32 s[sgprShadowLimitA+1], s[sgprShadowLimitA+1], 0 // extend limit for pre-pad
s_cmp_eq_u32 s[sgprShadowLimitA+1], 0              // are we within 2^32?
s_cselect_b32 s[sgprSrdA+2], s[sgprShadowLimitA+0], BufferLimitA // Move shadow to real if we are within 2^32
s_mul_hi_u32 s81, s[sgprStrideAK], s[sgprWorkGroup2] // Stride*WG
s_mul_i32 s80, s[sgprStrideAK], s[sgprWorkGroup2]  // Stride*WG
s_add_u32 s82, s82, s80                            // accum wg term to tilestart
s_addc_u32 s83, s83, s81                           // accum wg term to tilestart
                                                   // tileStart *= BPE (multiplier is 1, do nothing)
s_add_u32 s[sgprSrdA+0], s[sgprSrdA+0], s82        // SRD base = Address+ tileStart0
s_addc_u32 s[sgprSrdA+1], s[sgprSrdA+1], s83       // SRD base = Address+ tileStart1
s_mov_b32 s[sgprSrdA+3], Srd127_96                 // Set bits 127_96 in SRD


/* global read addresses: addresses b */

/* max read offset = size[n] * stride[n-1] */
s_mul_hi_u32 s83, s[sgprWorkGroup1], 256           // WorkGroup[01] * MT
s_mul_i32 s82, s[sgprWorkGroup1], 256              // WorkGroup[01] * MT
s_mul_hi_u32 s83, s82, s[sgprStrideB1J]            // tlu=0, scaled tile-offset by stride
s_mul_i32 s82, s82, s[sgprStrideB1J]               // tlu=0, scaled tile-offset by stride
s_sub_u32 s[sgprShadowLimitB+0], s[sgprTensor2dSizeB], s82 // sub tileStart
s_subb_u32 s[sgprShadowLimitB+1], s[sgprTensor2dSizeB+1], s83 // sub tileStart
s_lshl_b64 s[sgprShadowLimitB:sgprShadowLimitB+1], s[sgprShadowLimitB:sgprShadowLimitB+1], 0x0 // Set limit to use bytes
s_add_u32 s[sgprShadowLimitB+0], s[sgprShadowLimitB+0], 4 // extend limit for pre-pad
s_addc_u32 s[sgprShadowLimitB+1], s[sgprShadowLimitB+1], 0 // extend limit for pre-pad
s_cmp_eq_u32 s[sgprShadowLimitB+1], 0              // are we within 2^32?
s_cselect_b32 s[sgprSrdB+2], s[sgprShadowLimitB+0], BufferLimitB // Move shadow to real if we are within 2^32
s_mul_hi_u32 s81, s[sgprStrideBK], s[sgprWorkGroup2] // Stride*WG
s_mul_i32 s80, s[sgprStrideBK], s[sgprWorkGroup2]  // Stride*WG
s_add_u32 s82, s82, s80                            // accum wg term to tilestart
s_addc_u32 s83, s83, s81                           // accum wg term to tilestart
                                                   // tileStart *= BPE (multiplier is 1, do nothing)
s_add_u32 s[sgprSrdB+0], s[sgprSrdB+0], s82        // SRD base = Address+ tileStart0
s_addc_u32 s[sgprSrdB+1], s[sgprSrdB+1], s83       // SRD base = Address+ tileStart1
s_mov_b32 s[sgprSrdB+3], Srd127_96                 // Set bits 127_96 in SRD


/* global read addresses: increments a */

s_mul_i32 s[sgprGlobalReadIncsA+0], DepthU*BpeA, s[sgprStrideAL] // incrA unrollIdx)


/* global read addresses: increments b */

s_mov_b32 s[sgprGlobalReadIncsB+0], DepthU*BpeB    // incrB (unrollIdx)

/* declare loop num iterations */


s_lshr_b32 s[sgprLoopCounterL], s[sgprSizesSum+0], 6 // s[sgprLoopCounterL] = s[sgprSizesSum+0] / 64
s_mov_b32 s[sgprOrigLoopCounter], s[sgprLoopCounterL] // copy loop counter

s_and_b32 s[sgprStaggerUIter], s[sgprOrigStaggerUIter], s[sgprWorkGroup0] // Compute actual stagger start for this tile
s_lshl_b32 s[sgprStaggerUIter], s[sgprStaggerUIter], 1 // shift by StaggerUStride


/* SRDs += (StaggerUIter) * GlobalReadIncsA+0 */
s_mul_hi_u32 s81, s[sgprStaggerUIter], s[sgprGlobalReadIncsA+0] //  stagger byte offset
s_mul_i32 s80, s[sgprStaggerUIter], s[sgprGlobalReadIncsA+0] //  stagger byte offset
s_mul_hi_u32 s[sgprWrapUA+1], s[sgprLoopCounterL], s[sgprGlobalReadIncsA+0] // Number of bytes accessed by the unroll loop
s_mul_i32 s[sgprWrapUA+0], s[sgprLoopCounterL], s[sgprGlobalReadIncsA+0] // Number of bytes accessed by the unroll loop
s_sub_u32 s[sgprWrapUA+0], s[sgprGlobalReadIncsA+0], s[sgprWrapUA+0] // remove one iteration
s_subb_u32 s[sgprWrapUA+1], 0, s[sgprWrapUA+1]     // remove one iteration
s_add_u32 s[sgprSrdA+0], s[sgprSrdA+0], s80        // gra SRD += inc(lower)
s_addc_u32  s[sgprSrdA+1], s[sgprSrdA+1], s81      // gra SRD += inc(upper)
s_sub_u32 s[sgprShadowLimitA+0], s[sgprShadowLimitA+0], s80 // limit -= inc)
s_subb_u32 s[sgprShadowLimitA+1], s[sgprShadowLimitA+1], s81 // limit -= inc)
s_cmp_eq_u32 s[sgprShadowLimitA+1], 0              // are we within 2^32?
s_cselect_b32 s[sgprSrdA+2], s[sgprShadowLimitA+0], BufferLimitA // Move shadow to real if we are within 2^32


/* SRDs += (StaggerUIter) * GlobalReadIncsB+0 */
s_mul_hi_u32 s81, s[sgprStaggerUIter], s[sgprGlobalReadIncsB+0] //  stagger byte offset
s_mul_i32 s80, s[sgprStaggerUIter], s[sgprGlobalReadIncsB+0] //  stagger byte offset
s_mul_hi_u32 s[sgprWrapUB+1], s[sgprLoopCounterL], s[sgprGlobalReadIncsB+0] // Number of bytes accessed by the unroll loop
s_mul_i32 s[sgprWrapUB+0], s[sgprLoopCounterL], s[sgprGlobalReadIncsB+0] // Number of bytes accessed by the unroll loop
s_sub_u32 s[sgprWrapUB+0], s[sgprGlobalReadIncsB+0], s[sgprWrapUB+0] // remove one iteration
s_subb_u32 s[sgprWrapUB+1], 0, s[sgprWrapUB+1]     // remove one iteration
s_add_u32 s[sgprSrdB+0], s[sgprSrdB+0], s80        // gra SRD += inc(lower)
s_addc_u32  s[sgprSrdB+1], s[sgprSrdB+1], s81      // gra SRD += inc(upper)
s_sub_u32 s[sgprShadowLimitB+0], s[sgprShadowLimitB+0], s80 // limit -= inc)
s_subb_u32 s[sgprShadowLimitB+1], s[sgprShadowLimitB+1], s81 // limit -= inc)
s_cmp_eq_u32 s[sgprShadowLimitB+1], 0              // are we within 2^32?
s_cselect_b32 s[sgprSrdB+2], s[sgprShadowLimitB+0], BufferLimitB // Move shadow to real if we are within 2^32
s_add_u32 s[sgprStaggerUIter], s[sgprStaggerUIter], 2 // Subtract (PGR-1); StaggerUIter now contains target iteration to wrap

/* local read addresses: init pointers a */


/* localReadInitPointers */

/* local read addresses: init pointers b */


/* localReadInitPointers */


/* prefetch: global -> local */

s_cmp_eq_u32 s[sgprLoopCounterL], 0                // at last iteration?
s_setprio 0                                        // optimization store
s_cbranch_scc1 ShadowInitStart_10                  // skip to ShadowInitStart iter b/c numIter==0


_buffer_load_b128 v[vgprG2LA+0:vgprG2LA+0+3], v[vgprGlobalReadOffsetA+0], s[sgprSrdA:sgprSrdA+3], 0, offen offset:0 // G -> Reg 0_0_0_0
_buffer_load_b128 v[vgprG2LA+4:vgprG2LA+4+3], v[vgprGlobalReadOffsetA+0], s[sgprSrdA:sgprSrdA+3], s[sgprScalarGlobalReadOffsetA+0], offen offset:0 // G -> Reg 0_0_1_0
_buffer_load_b128 v[vgprG2LA+8:vgprG2LA+8+3], v[vgprGlobalReadOffsetA+0], s[sgprSrdA:sgprSrdA+3], s[sgprScalarGlobalReadOffsetA+1], offen offset:0 // G -> Reg 0_0_2_0
_buffer_load_b128 v[vgprG2LA+12:vgprG2LA+12+3], v[vgprGlobalReadOffsetA+0], s[sgprSrdA:sgprSrdA+3], s[sgprScalarGlobalReadOffsetA+2], offen offset:0 // G -> Reg 0_0_3_0


_buffer_load_b32 v[vgprG2LB+0], v[vgprGlobalReadOffsetB+0], s[sgprSrdB:sgprSrdB+3], 0, offen offset:0 // G -> Reg 0_0_0_0
_buffer_load_b32 v[vgprG2LB+1], v[vgprGlobalReadOffsetB+0], s[sgprSrdB:sgprSrdB+3], s[sgprScalarGlobalReadOffsetB+0], offen offset:0 // G -> Reg 0_0_1_0
_buffer_load_b32 v[vgprG2LB+2], v[vgprGlobalReadOffsetB+0], s[sgprSrdB:sgprSrdB+3], s[sgprScalarGlobalReadOffsetB+1], offen offset:0 // G -> Reg 0_0_2_0
_buffer_load_b32 v[vgprG2LB+3], v[vgprGlobalReadOffsetB+0], s[sgprSrdB:sgprSrdB+3], s[sgprScalarGlobalReadOffsetB+2], offen offset:0 // G -> Reg 0_0_3_0
_buffer_load_b32 v[vgprG2LB+4], v[vgprGlobalReadOffsetB+0], s[sgprSrdB:sgprSrdB+3], s[sgprScalarGlobalReadOffsetB+3], offen offset:0 // G -> Reg 0_0_4_0
_buffer_load_b32 v[vgprG2LB+5], v[vgprGlobalReadOffsetB+0], s[sgprSrdB:sgprSrdB+3], s[sgprScalarGlobalReadOffsetB+4], offen offset:0 // G -> Reg 0_0_5_0
_buffer_load_b32 v[vgprG2LB+6], v[vgprGlobalReadOffsetB+0], s[sgprSrdB:sgprSrdB+3], s[sgprScalarGlobalReadOffsetB+5], offen offset:0 // G -> Reg 0_0_6_0
_buffer_load_b32 v[vgprG2LB+7], v[vgprGlobalReadOffsetB+0], s[sgprSrdB:sgprSrdB+3], s[sgprScalarGlobalReadOffsetB+6], offen offset:0 // G -> Reg 0_0_7_0
_buffer_load_b32 v[vgprG2LB+8], v[vgprGlobalReadOffsetB+0], s[sgprSrdB:sgprSrdB+3], s[sgprScalarGlobalReadOffsetB+7], offen offset:0 // G -> Reg 0_0_8_0
_buffer_load_b32 v[vgprG2LB+9], v[vgprGlobalReadOffsetB+0], s[sgprSrdB:sgprSrdB+3], s[sgprScalarGlobalReadOffsetB+8], offen offset:0 // G -> Reg 0_0_9_0
_buffer_load_b32 v[vgprG2LB+10], v[vgprGlobalReadOffsetB+0], s[sgprSrdB:sgprSrdB+3], s[sgprScalarGlobalReadOffsetB+9], offen offset:0 // G -> Reg 0_0_10_0
_buffer_load_b32 v[vgprG2LB+11], v[vgprGlobalReadOffsetB+0], s[sgprSrdB:sgprSrdB+3], s[sgprScalarGlobalReadOffsetB+10], offen offset:0 // G -> Reg 0_0_11_0
_buffer_load_b32 v[vgprG2LB+12], v[vgprGlobalReadOffsetB+0], s[sgprSrdB:sgprSrdB+3], s[sgprScalarGlobalReadOffsetB+11], offen offset:0 // G -> Reg 0_0_12_0
_buffer_load_b32 v[vgprG2LB+13], v[vgprGlobalReadOffsetB+0], s[sgprSrdB:sgprSrdB+3], s[sgprScalarGlobalReadOffsetB+12], offen offset:0 // G -> Reg 0_0_13_0
_buffer_load_b32 v[vgprG2LB+14], v[vgprGlobalReadOffsetB+0], s[sgprSrdB:sgprSrdB+3], s[sgprScalarGlobalReadOffsetB+13], offen offset:0 // G -> Reg 0_0_14_0
_buffer_load_b32 v[vgprG2LB+15], v[vgprGlobalReadOffsetB+0], s[sgprSrdB:sgprSrdB+3], s[sgprScalarGlobalReadOffsetB+14], offen offset:0 // G -> Reg 0_0_15_0


/* global read inc A loopL */
s_add_u32 s82, s[sgprLoopCounterL], 1              // remove pf(1)
s_cmp_eq_u32 s[sgprStaggerUIter], s82              // Is this wrapIter? (pf)
s_cselect_b32 s80, s[sgprWrapUA+0], s[sgprGlobalReadIncsA+0] // incLower <- ?
s_cselect_b32 s81, s[sgprWrapUA+1], 0              // incUpper <- ?
s_add_u32 s[sgprSrdA+0], s[sgprSrdA+0], s80        // gra SRD += inc(lower)
s_addc_u32  s[sgprSrdA+1], s[sgprSrdA+1], s81      // gra SRD += inc(upper)
s_sub_u32 s[sgprShadowLimitA+0], s[sgprShadowLimitA+0], s80 // limit -= inc)
s_subb_u32 s[sgprShadowLimitA+1], s[sgprShadowLimitA+1], s81 // limit -= inc)
s_cmp_eq_u32 s[sgprShadowLimitA+1], 0              // are we within 2^32?
s_cselect_b32 s[sgprSrdA+2], s[sgprShadowLimitA+0], BufferLimitA // Move shadow to real if we are within 2^32

/* global read inc B loopL */
s_add_u32 s82, s[sgprLoopCounterL], 1              // remove pf(1)
s_cmp_eq_u32 s[sgprStaggerUIter], s82              // Is this wrapIter? (pf)
s_cselect_b32 s80, s[sgprWrapUB+0], s[sgprGlobalReadIncsB+0] // incLower <- ?
s_cselect_b32 s81, s[sgprWrapUB+1], 0              // incUpper <- ?
s_add_u32 s[sgprSrdB+0], s[sgprSrdB+0], s80        // gra SRD += inc(lower)
s_addc_u32  s[sgprSrdB+1], s[sgprSrdB+1], s81      // gra SRD += inc(upper)
s_sub_u32 s[sgprShadowLimitB+0], s[sgprShadowLimitB+0], s80 // limit -= inc)
s_subb_u32 s[sgprShadowLimitB+1], s[sgprShadowLimitB+1], s81 // limit -= inc)
s_cmp_eq_u32 s[sgprShadowLimitB+1], 0              // are we within 2^32?
s_cselect_b32 s[sgprSrdB+2], s[sgprShadowLimitB+0], BufferLimitB // Move shadow to real if we are within 2^32


/******************************************/
/* End setupNewTile, isPap=False             */
/******************************************/

ShadowInitStart_10: // 

s_mov_b32 s[sgprSrdD+2], BufferOOB                 // 
s_mov_b32 s[sgprSrdD+3], Srd127_96                 // Set bits 127_96 in post-loop SRD

s_mov_b32 s[sgprSrdC+2], BufferOOB                 // 
s_mov_b32 s[sgprSrdC+3], Srd127_96                 // Set bits 127_96 in post-loop SRD


s_mul_i32 s82, MT1, s[sgprWorkGroup1]              // <- wg1*MT1
s_mul_hi_u32 s81, s82, s[sgprStrideC1J]            // CScale s82 by Stride
s_mul_i32 s80, s82, s[sgprStrideC1J]               // CScale s82 by Stride
s_lshl_b64 s[80:81], s[80:81], 0                   // scale by bpe
s_add_u32 s[sgprSrdC+0], s[sgprSrdC+0], s80        // add lo to SRD
s_addc_u32 s[sgprSrdC+1], s[sgprSrdC+1], s81       // add hi to SRD
s_mul_hi_u32 s81, s82, s[sgprStrideD1J]            // Scale s82 by Stride
s_mul_i32 s80, s82, s[sgprStrideD1J]               // Scale s82 by Stride
s_lshl_b64 s[80:81], s[80:81], 0                   // scale by bpe
s_add_u32 s[sgprSrdD+0], s[sgprSrdD+0], s80        // add lo to SRD
s_addc_u32 s[sgprSrdD+1], s[sgprSrdD+1], s81       // add hi to SRD

s_mul_hi_u32 s81, s[sgprWorkGroup2], s[sgprStrideCK] // CScale s[sgprWorkGroup2] by Stride
s_mul_i32 s80, s[sgprWorkGroup2], s[sgprStrideCK]  // CScale s[sgprWorkGroup2] by Stride
s_lshl_b64 s[80:81], s[80:81], 0                   // scale by bpe
s_add_u32 s[sgprSrdC+0], s[sgprSrdC+0], s80        // add lo to SRD
s_addc_u32 s[sgprSrdC+1], s[sgprSrdC+1], s81       // add hi to SRD
s_mul_hi_u32 s81, s[sgprWorkGroup2], s[sgprStrideDK] // Scale s[sgprWorkGroup2] by Stride
s_mul_i32 s80, s[sgprWorkGroup2], s[sgprStrideDK]  // Scale s[sgprWorkGroup2] by Stride
s_lshl_b64 s[80:81], s[80:81], 0                   // scale by bpe
s_add_u32 s[sgprSrdD+0], s[sgprSrdD+0], s80        // add lo to SRD
s_addc_u32 s[sgprSrdD+1], s[sgprSrdD+1], s81       // add hi to SRD


	;; [unrolled: 1-line block ×3, first 2 shown]
/* initC: remove C-tile 0-0 from pool */

/* initC: remove AB-tile 0-88 from pool */
v_accvgpr_write acc0, 0x0                          // initC
v_accvgpr_write acc1, 0x0                          // initC
v_accvgpr_write acc2, 0x0                          // initC
v_accvgpr_write acc3, 0x0                          // initC
v_accvgpr_write acc4, 0x0                          // initC
v_accvgpr_write acc5, 0x0                          // initC
v_accvgpr_write acc6, 0x0                          // initC
v_accvgpr_write acc7, 0x0                          // initC
v_accvgpr_write acc8, 0x0                          // initC
v_accvgpr_write acc9, 0x0                          // initC
v_accvgpr_write acc10, 0x0                         // initC
v_accvgpr_write acc11, 0x0                         // initC
v_accvgpr_write acc12, 0x0                         // initC
v_accvgpr_write acc13, 0x0                         // initC
v_accvgpr_write acc14, 0x0                         // initC
v_accvgpr_write acc15, 0x0                         // initC
v_accvgpr_write acc16, 0x0                         // initC
v_accvgpr_write acc17, 0x0                         // initC
v_accvgpr_write acc18, 0x0                         // initC
v_accvgpr_write acc19, 0x0                         // initC
v_accvgpr_write acc20, 0x0                         // initC
v_accvgpr_write acc21, 0x0                         // initC
v_accvgpr_write acc22, 0x0                         // initC
v_accvgpr_write acc23, 0x0                         // initC
v_accvgpr_write acc24, 0x0                         // initC
v_accvgpr_write acc25, 0x0                         // initC
v_accvgpr_write acc26, 0x0                         // initC
v_accvgpr_write acc27, 0x0                         // initC
v_accvgpr_write acc28, 0x0                         // initC
v_accvgpr_write acc29, 0x0                         // initC
v_accvgpr_write acc30, 0x0                         // initC
v_accvgpr_write acc31, 0x0                         // initC
v_accvgpr_write acc32, 0x0                         // initC
v_accvgpr_write acc33, 0x0                         // initC
v_accvgpr_write acc34, 0x0                         // initC
v_accvgpr_write acc35, 0x0                         // initC
v_accvgpr_write acc36, 0x0                         // initC
v_accvgpr_write acc37, 0x0                         // initC
v_accvgpr_write acc38, 0x0                         // initC
v_accvgpr_write acc39, 0x0                         // initC
v_accvgpr_write acc40, 0x0                         // initC
v_accvgpr_write acc41, 0x0                         // initC
v_accvgpr_write acc42, 0x0                         // initC
v_accvgpr_write acc43, 0x0                         // initC
v_accvgpr_write acc44, 0x0                         // initC
v_accvgpr_write acc45, 0x0                         // initC
v_accvgpr_write acc46, 0x0                         // initC
v_accvgpr_write acc47, 0x0                         // initC
v_accvgpr_write acc48, 0x0                         // initC
v_accvgpr_write acc49, 0x0                         // initC
v_accvgpr_write acc50, 0x0                         // initC
v_accvgpr_write acc51, 0x0                         // initC
v_accvgpr_write acc52, 0x0                         // initC
v_accvgpr_write acc53, 0x0                         // initC
v_accvgpr_write acc54, 0x0                         // initC
v_accvgpr_write acc55, 0x0                         // initC
v_accvgpr_write acc56, 0x0                         // initC
v_accvgpr_write acc57, 0x0                         // initC
v_accvgpr_write acc58, 0x0                         // initC
v_accvgpr_write acc59, 0x0                         // initC
v_accvgpr_write acc60, 0x0                         // initC
v_accvgpr_write acc61, 0x0                         // initC
v_accvgpr_write acc62, 0x0                         // initC
v_accvgpr_write acc63, 0x0                         // initC
v_accvgpr_write acc64, 0x0                         // initC
v_accvgpr_write acc65, 0x0                         // initC
v_accvgpr_write acc66, 0x0                         // initC
v_accvgpr_write acc67, 0x0                         // initC
v_accvgpr_write acc68, 0x0                         // initC
v_accvgpr_write acc69, 0x0                         // initC
v_accvgpr_write acc70, 0x0                         // initC
v_accvgpr_write acc71, 0x0                         // initC
v_accvgpr_write acc72, 0x0                         // initC
v_accvgpr_write acc73, 0x0                         // initC
v_accvgpr_write acc74, 0x0                         // initC
v_accvgpr_write acc75, 0x0                         // initC
v_accvgpr_write acc76, 0x0                         // initC
v_accvgpr_write acc77, 0x0                         // initC
v_accvgpr_write acc78, 0x0                         // initC
v_accvgpr_write acc79, 0x0                         // initC
v_accvgpr_write acc80, 0x0                         // initC
v_accvgpr_write acc81, 0x0                         // initC
v_accvgpr_write acc82, 0x0                         // initC
v_accvgpr_write acc83, 0x0                         // initC
v_accvgpr_write acc84, 0x0                         // initC
v_accvgpr_write acc85, 0x0                         // initC
v_accvgpr_write acc86, 0x0                         // initC
v_accvgpr_write acc87, 0x0                         // initC
v_accvgpr_write acc88, 0x0                         // initC
v_accvgpr_write acc89, 0x0                         // initC
v_accvgpr_write acc90, 0x0                         // initC
v_accvgpr_write acc91, 0x0                         // initC
v_accvgpr_write acc92, 0x0                         // initC
v_accvgpr_write acc93, 0x0                         // initC
v_accvgpr_write acc94, 0x0                         // initC
v_accvgpr_write acc95, 0x0                         // initC
v_accvgpr_write acc96, 0x0                         // initC
v_accvgpr_write acc97, 0x0                         // initC
v_accvgpr_write acc98, 0x0                         // initC
v_accvgpr_write acc99, 0x0                         // initC
v_accvgpr_write acc100, 0x0                        // initC
v_accvgpr_write acc101, 0x0                        // initC
v_accvgpr_write acc102, 0x0                        // initC
v_accvgpr_write acc103, 0x0                        // initC
v_accvgpr_write acc104, 0x0                        // initC
v_accvgpr_write acc105, 0x0                        // initC
v_accvgpr_write acc106, 0x0                        // initC
v_accvgpr_write acc107, 0x0                        // initC
v_accvgpr_write acc108, 0x0                        // initC
v_accvgpr_write acc109, 0x0                        // initC
v_accvgpr_write acc110, 0x0                        // initC
v_accvgpr_write acc111, 0x0                        // initC
v_accvgpr_write acc112, 0x0                        // initC
v_accvgpr_write acc113, 0x0                        // initC
v_accvgpr_write acc114, 0x0                        // initC
v_accvgpr_write acc115, 0x0                        // initC
v_accvgpr_write acc116, 0x0                        // initC
v_accvgpr_write acc117, 0x0                        // initC
v_accvgpr_write acc118, 0x0                        // initC
v_accvgpr_write acc119, 0x0                        // initC
v_accvgpr_write acc120, 0x0                        // initC
v_accvgpr_write acc121, 0x0                        // initC
v_accvgpr_write acc122, 0x0                        // initC
v_accvgpr_write acc123, 0x0                        // initC
v_accvgpr_write acc124, 0x0                        // initC
v_accvgpr_write acc125, 0x0                        // initC
v_accvgpr_write acc126, 0x0                        // initC
v_accvgpr_write acc127, 0x0                        // initC
v_accvgpr_write acc128, 0x0                        // initC
v_accvgpr_write acc129, 0x0                        // initC
v_accvgpr_write acc130, 0x0                        // initC
v_accvgpr_write acc131, 0x0                        // initC
v_accvgpr_write acc132, 0x0                        // initC
v_accvgpr_write acc133, 0x0                        // initC
v_accvgpr_write acc134, 0x0                        // initC
v_accvgpr_write acc135, 0x0                        // initC
v_accvgpr_write acc136, 0x0                        // initC
v_accvgpr_write acc137, 0x0                        // initC
v_accvgpr_write acc138, 0x0                        // initC
v_accvgpr_write acc139, 0x0                        // initC
v_accvgpr_write acc140, 0x0                        // initC
v_accvgpr_write acc141, 0x0                        // initC
v_accvgpr_write acc142, 0x0                        // initC
v_accvgpr_write acc143, 0x0                        // initC
v_accvgpr_write acc144, 0x0                        // initC
v_accvgpr_write acc145, 0x0                        // initC
v_accvgpr_write acc146, 0x0                        // initC
v_accvgpr_write acc147, 0x0                        // initC
v_accvgpr_write acc148, 0x0                        // initC
v_accvgpr_write acc149, 0x0                        // initC
v_accvgpr_write acc150, 0x0                        // initC
v_accvgpr_write acc151, 0x0                        // initC
v_accvgpr_write acc152, 0x0                        // initC
v_accvgpr_write acc153, 0x0                        // initC
v_accvgpr_write acc154, 0x0                        // initC
v_accvgpr_write acc155, 0x0                        // initC
v_accvgpr_write acc156, 0x0                        // initC
v_accvgpr_write acc157, 0x0                        // initC
v_accvgpr_write acc158, 0x0                        // initC
v_accvgpr_write acc159, 0x0                        // initC
v_accvgpr_write acc160, 0x0                        // initC
v_accvgpr_write acc161, 0x0                        // initC
v_accvgpr_write acc162, 0x0                        // initC
v_accvgpr_write acc163, 0x0                        // initC
v_accvgpr_write acc164, 0x0                        // initC
v_accvgpr_write acc165, 0x0                        // initC
v_accvgpr_write acc166, 0x0                        // initC
v_accvgpr_write acc167, 0x0                        // initC
v_accvgpr_write acc168, 0x0                        // initC
v_accvgpr_write acc169, 0x0                        // initC
v_accvgpr_write acc170, 0x0                        // initC
v_accvgpr_write acc171, 0x0                        // initC
v_accvgpr_write acc172, 0x0                        // initC
v_accvgpr_write acc173, 0x0                        // initC
v_accvgpr_write acc174, 0x0                        // initC
v_accvgpr_write acc175, 0x0                        // initC
v_accvgpr_write acc176, 0x0                        // initC
v_accvgpr_write acc177, 0x0                        // initC
v_accvgpr_write acc178, 0x0                        // initC
v_accvgpr_write acc179, 0x0                        // initC
v_accvgpr_write acc180, 0x0                        // initC
v_accvgpr_write acc181, 0x0                        // initC
v_accvgpr_write acc182, 0x0                        // initC
v_accvgpr_write acc183, 0x0                        // initC
v_accvgpr_write acc184, 0x0                        // initC
v_accvgpr_write acc185, 0x0                        // initC
v_accvgpr_write acc186, 0x0                        // initC
v_accvgpr_write acc187, 0x0                        // initC
v_accvgpr_write acc188, 0x0                        // initC
v_accvgpr_write acc189, 0x0                        // initC
v_accvgpr_write acc190, 0x0                        // initC
v_accvgpr_write acc191, 0x0                        // initC
v_accvgpr_write acc192, 0x0                        // initC
v_accvgpr_write acc193, 0x0                        // initC
v_accvgpr_write acc194, 0x0                        // initC
v_accvgpr_write acc195, 0x0                        // initC
v_accvgpr_write acc196, 0x0                        // initC
v_accvgpr_write acc197, 0x0                        // initC
v_accvgpr_write acc198, 0x0                        // initC
v_accvgpr_write acc199, 0x0                        // initC
v_accvgpr_write acc200, 0x0                        // initC
v_accvgpr_write acc201, 0x0                        // initC
v_accvgpr_write acc202, 0x0                        // initC
v_accvgpr_write acc203, 0x0                        // initC
v_accvgpr_write acc204, 0x0                        // initC
v_accvgpr_write acc205, 0x0                        // initC
v_accvgpr_write acc206, 0x0                        // initC
v_accvgpr_write acc207, 0x0                        // initC
v_accvgpr_write acc208, 0x0                        // initC
v_accvgpr_write acc209, 0x0                        // initC
v_accvgpr_write acc210, 0x0                        // initC
v_accvgpr_write acc211, 0x0                        // initC
v_accvgpr_write acc212, 0x0                        // initC
v_accvgpr_write acc213, 0x0                        // initC
v_accvgpr_write acc214, 0x0                        // initC
v_accvgpr_write acc215, 0x0                        // initC
v_accvgpr_write acc216, 0x0                        // initC
v_accvgpr_write acc217, 0x0                        // initC
v_accvgpr_write acc218, 0x0                        // initC
v_accvgpr_write acc219, 0x0                        // initC
v_accvgpr_write acc220, 0x0                        // initC
v_accvgpr_write acc221, 0x0                        // initC
v_accvgpr_write acc222, 0x0                        // initC
v_accvgpr_write acc223, 0x0                        // initC
v_accvgpr_write acc224, 0x0                        // initC
v_accvgpr_write acc225, 0x0                        // initC
v_accvgpr_write acc226, 0x0                        // initC
v_accvgpr_write acc227, 0x0                        // initC
v_accvgpr_write acc228, 0x0                        // initC
v_accvgpr_write acc229, 0x0                        // initC
v_accvgpr_write acc230, 0x0                        // initC
v_accvgpr_write acc231, 0x0                        // initC
v_accvgpr_write acc232, 0x0                        // initC
v_accvgpr_write acc233, 0x0                        // initC
v_accvgpr_write acc234, 0x0                        // initC
v_accvgpr_write acc235, 0x0                        // initC
v_accvgpr_write acc236, 0x0                        // initC
v_accvgpr_write acc237, 0x0                        // initC
v_accvgpr_write acc238, 0x0                        // initC
v_accvgpr_write acc239, 0x0                        // initC
v_accvgpr_write acc240, 0x0                        // initC
v_accvgpr_write acc241, 0x0                        // initC
v_accvgpr_write acc242, 0x0                        // initC
v_accvgpr_write acc243, 0x0                        // initC
v_accvgpr_write acc244, 0x0                        // initC
v_accvgpr_write acc245, 0x0                        // initC
v_accvgpr_write acc246, 0x0                        // initC
v_accvgpr_write acc247, 0x0                        // initC
v_accvgpr_write acc248, 0x0                        // initC
v_accvgpr_write acc249, 0x0                        // initC
v_accvgpr_write acc250, 0x0                        // initC
v_accvgpr_write acc251, 0x0                        // initC
v_accvgpr_write acc252, 0x0                        // initC
v_accvgpr_write acc253, 0x0                        // initC
v_accvgpr_write acc254, 0x0                        // initC
v_accvgpr_write acc255, 0x0                        // initC

s_cmp_eq_u32 s[sgprLoopCounterL], 0                // at last iteration?

/* after InitC, skip to end of prefetch last iter if numIter==0 */
s_cbranch_scc0 label_NoBranch_11                   // Only branch on scc1
s_getpc_B64 s[80:81]                               // addr of next instr
s_add_i32 s82, PrefetchGlobalLastIterEnd_5, 0x4    // target branch offset
s_add_u32 s80, s80, s82                            // add target branch offset
s_addc_u32 s81, s81, 0                             // add high and carry
s_setpc_b64 s[80:81]                               // branch to PrefetchGlobalLastIterEnd_5
label_NoBranch_11:

s_waitcnt vmcnt(0)                                 // lgkmcnt=-1 vmcnt=0 8wait for global read


/* local write a */
_ds_store_b128 v[vgprLocalWriteAddrA], v[vgprG2LA+0:vgprG2LA+0+3] offset:0 // lwoA_0_0_0_0 = (0*LSCA) + (0*LSPA)(*MT0I+PAD) = 0
_ds_store_b128 v[vgprLocalWriteAddrA], v[vgprG2LA+4:vgprG2LA+4+3] offset:1024 // lwoA_0_0_1_0 = (0*LSCA) + (1*LSPA)(*MT0I+PAD) = 1024
_ds_store_b128 v[vgprLocalWriteAddrA], v[vgprG2LA+8:vgprG2LA+8+3] offset:2112 // lwoA_0_0_2_0 = (0*LSCA) + (2*LSPA)(*MT0I+PAD) = 2112
_ds_store_b128 v[vgprLocalWriteAddrA], v[vgprG2LA+12:vgprG2LA+12+3] offset:3136 // lwoA_0_0_3_0 = (0*LSCA) + (3*LSPA)(*MT0I+PAD) = 3136

/* local write b */
_ds_store_b32 v[vgprLocalWriteAddrB], v[vgprG2LB+0] offset:0 // lwoB_0_0_0_0 = (0*LSCB)*(MT1J+PAD) + (0*LSPB) = 0
_ds_store_b32 v[vgprLocalWriteAddrB], v[vgprG2LB+1] offset:1088 // lwoB_0_0_1_0 = (0*LSCB)*(MT1J+PAD) + (1*LSPB) = 1088
_ds_store_b32 v[vgprLocalWriteAddrB], v[vgprG2LB+2] offset:2176 // lwoB_0_0_2_0 = (0*LSCB)*(MT1J+PAD) + (2*LSPB) = 2176
_ds_store_b32 v[vgprLocalWriteAddrB], v[vgprG2LB+3] offset:3264 // lwoB_0_0_3_0 = (0*LSCB)*(MT1J+PAD) + (3*LSPB) = 3264
_ds_store_b32 v[vgprLocalWriteAddrB], v[vgprG2LB+4] offset:4352 // lwoB_0_0_4_0 = (0*LSCB)*(MT1J+PAD) + (4*LSPB) = 4352
_ds_store_b32 v[vgprLocalWriteAddrB], v[vgprG2LB+5] offset:5440 // lwoB_0_0_5_0 = (0*LSCB)*(MT1J+PAD) + (5*LSPB) = 5440
_ds_store_b32 v[vgprLocalWriteAddrB], v[vgprG2LB+6] offset:6528 // lwoB_0_0_6_0 = (0*LSCB)*(MT1J+PAD) + (6*LSPB) = 6528
_ds_store_b32 v[vgprLocalWriteAddrB], v[vgprG2LB+7] offset:7616 // lwoB_0_0_7_0 = (0*LSCB)*(MT1J+PAD) + (7*LSPB) = 7616
_ds_store_b32 v[vgprLocalWriteAddrB], v[vgprG2LB+8] offset:8704 // lwoB_0_0_8_0 = (0*LSCB)*(MT1J+PAD) + (8*LSPB) = 8704
_ds_store_b32 v[vgprLocalWriteAddrB], v[vgprG2LB+9] offset:9792 // lwoB_0_0_9_0 = (0*LSCB)*(MT1J+PAD) + (9*LSPB) = 9792
_ds_store_b32 v[vgprLocalWriteAddrB], v[vgprG2LB+10] offset:10880 // lwoB_0_0_10_0 = (0*LSCB)*(MT1J+PAD) + (10*LSPB) = 10880
_ds_store_b32 v[vgprLocalWriteAddrB], v[vgprG2LB+11] offset:11968 // lwoB_0_0_11_0 = (0*LSCB)*(MT1J+PAD) + (11*LSPB) = 11968
_ds_store_b32 v[vgprLocalWriteAddrB], v[vgprG2LB+12] offset:13056 // lwoB_0_0_12_0 = (0*LSCB)*(MT1J+PAD) + (12*LSPB) = 13056
_ds_store_b32 v[vgprLocalWriteAddrB], v[vgprG2LB+13] offset:14144 // lwoB_0_0_13_0 = (0*LSCB)*(MT1J+PAD) + (13*LSPB) = 14144
_ds_store_b32 v[vgprLocalWriteAddrB], v[vgprG2LB+14] offset:15232 // lwoB_0_0_14_0 = (0*LSCB)*(MT1J+PAD) + (14*LSPB) = 15232
_ds_store_b32 v[vgprLocalWriteAddrB], v[vgprG2LB+15] offset:16320 // lwoB_0_0_15_0 = (0*LSCB)*(MT1J+PAD) + (15*LSPB) = 16320


/* local write swap a */


	;; [unrolled: 1-line block ×3, first 2 shown]
/* local write swap b */


	;; [unrolled: 1-line block ×4, first 2 shown]
s_cmp_eq_u32 s[sgprLoopCounterL] 0x1               // PGR=2 but only 1 loop
s_cbranch_scc1 label_0012                          // PGR=2 but only 1 loop


_buffer_load_b128 v[vgprG2LA+0:vgprG2LA+0+3], v[vgprGlobalReadOffsetA+0], s[sgprSrdA:sgprSrdA+3], 0, offen offset:0 // G -> Reg 0_0_0_0
_buffer_load_b128 v[vgprG2LA+4:vgprG2LA+4+3], v[vgprGlobalReadOffsetA+0], s[sgprSrdA:sgprSrdA+3], s[sgprScalarGlobalReadOffsetA+0], offen offset:0 // G -> Reg 0_0_1_0
_buffer_load_b128 v[vgprG2LA+8:vgprG2LA+8+3], v[vgprGlobalReadOffsetA+0], s[sgprSrdA:sgprSrdA+3], s[sgprScalarGlobalReadOffsetA+1], offen offset:0 // G -> Reg 0_0_2_0
_buffer_load_b128 v[vgprG2LA+12:vgprG2LA+12+3], v[vgprGlobalReadOffsetA+0], s[sgprSrdA:sgprSrdA+3], s[sgprScalarGlobalReadOffsetA+2], offen offset:0 // G -> Reg 0_0_3_0


_buffer_load_b32 v[vgprG2LB+0], v[vgprGlobalReadOffsetB+0], s[sgprSrdB:sgprSrdB+3], 0, offen offset:0 // G -> Reg 0_0_0_0
_buffer_load_b32 v[vgprG2LB+1], v[vgprGlobalReadOffsetB+0], s[sgprSrdB:sgprSrdB+3], s[sgprScalarGlobalReadOffsetB+0], offen offset:0 // G -> Reg 0_0_1_0
_buffer_load_b32 v[vgprG2LB+2], v[vgprGlobalReadOffsetB+0], s[sgprSrdB:sgprSrdB+3], s[sgprScalarGlobalReadOffsetB+1], offen offset:0 // G -> Reg 0_0_2_0
_buffer_load_b32 v[vgprG2LB+3], v[vgprGlobalReadOffsetB+0], s[sgprSrdB:sgprSrdB+3], s[sgprScalarGlobalReadOffsetB+2], offen offset:0 // G -> Reg 0_0_3_0
_buffer_load_b32 v[vgprG2LB+4], v[vgprGlobalReadOffsetB+0], s[sgprSrdB:sgprSrdB+3], s[sgprScalarGlobalReadOffsetB+3], offen offset:0 // G -> Reg 0_0_4_0
_buffer_load_b32 v[vgprG2LB+5], v[vgprGlobalReadOffsetB+0], s[sgprSrdB:sgprSrdB+3], s[sgprScalarGlobalReadOffsetB+4], offen offset:0 // G -> Reg 0_0_5_0
_buffer_load_b32 v[vgprG2LB+6], v[vgprGlobalReadOffsetB+0], s[sgprSrdB:sgprSrdB+3], s[sgprScalarGlobalReadOffsetB+5], offen offset:0 // G -> Reg 0_0_6_0
_buffer_load_b32 v[vgprG2LB+7], v[vgprGlobalReadOffsetB+0], s[sgprSrdB:sgprSrdB+3], s[sgprScalarGlobalReadOffsetB+6], offen offset:0 // G -> Reg 0_0_7_0
_buffer_load_b32 v[vgprG2LB+8], v[vgprGlobalReadOffsetB+0], s[sgprSrdB:sgprSrdB+3], s[sgprScalarGlobalReadOffsetB+7], offen offset:0 // G -> Reg 0_0_8_0
_buffer_load_b32 v[vgprG2LB+9], v[vgprGlobalReadOffsetB+0], s[sgprSrdB:sgprSrdB+3], s[sgprScalarGlobalReadOffsetB+8], offen offset:0 // G -> Reg 0_0_9_0
_buffer_load_b32 v[vgprG2LB+10], v[vgprGlobalReadOffsetB+0], s[sgprSrdB:sgprSrdB+3], s[sgprScalarGlobalReadOffsetB+9], offen offset:0 // G -> Reg 0_0_10_0
_buffer_load_b32 v[vgprG2LB+11], v[vgprGlobalReadOffsetB+0], s[sgprSrdB:sgprSrdB+3], s[sgprScalarGlobalReadOffsetB+10], offen offset:0 // G -> Reg 0_0_11_0
_buffer_load_b32 v[vgprG2LB+12], v[vgprGlobalReadOffsetB+0], s[sgprSrdB:sgprSrdB+3], s[sgprScalarGlobalReadOffsetB+11], offen offset:0 // G -> Reg 0_0_12_0
_buffer_load_b32 v[vgprG2LB+13], v[vgprGlobalReadOffsetB+0], s[sgprSrdB:sgprSrdB+3], s[sgprScalarGlobalReadOffsetB+12], offen offset:0 // G -> Reg 0_0_13_0
_buffer_load_b32 v[vgprG2LB+14], v[vgprGlobalReadOffsetB+0], s[sgprSrdB:sgprSrdB+3], s[sgprScalarGlobalReadOffsetB+13], offen offset:0 // G -> Reg 0_0_14_0
_buffer_load_b32 v[vgprG2LB+15], v[vgprGlobalReadOffsetB+0], s[sgprSrdB:sgprSrdB+3], s[sgprScalarGlobalReadOffsetB+14], offen offset:0 // G -> Reg 0_0_15_0

label_0012:                                        // 

s_waitcnt lgkmcnt(0)                               // lgkmcnt=0 vmcnt=-10prefetch wait for local write

// Skip force waitcnt0
s_barrier //


/* local read prefetch a */

_ds_load_b32 v[vgprValuA_X0_I0_D0+0], v[vgprLocalReadAddrA] offset:0 // L -> Reg lro=0 swapByteOffset=0 ti=256 vIdx=0 rIdx=0 oIdx=0 buffer=0 iui=0
_ds_load_b32 v[vgprValuA_X0_I0_D1+0], v[vgprLocalReadAddrA] offset:256 // L -> Reg lro=0 swapByteOffset=0 ti=256 vIdx=0 rIdx=1 oIdx=0 buffer=0 iui=0
_ds_load_b32 v[vgprValuA_X0_I0_D2+0], v[vgprLocalReadAddrA] offset:512 // L -> Reg lro=0 swapByteOffset=0 ti=256 vIdx=0 rIdx=2 oIdx=0 buffer=0 iui=0
_ds_load_b32 v[vgprValuA_X0_I0_D3+0], v[vgprLocalReadAddrA] offset:768 // L -> Reg lro=0 swapByteOffset=0 ti=256 vIdx=0 rIdx=3 oIdx=0 buffer=0 iui=0
_ds_load_b32 v[vgprValuA_X0_I0_D4+0], v[vgprLocalReadAddrA] offset:1024 // L -> Reg lro=0 swapByteOffset=0 ti=256 vIdx=0 rIdx=4 oIdx=0 buffer=0 iui=0
_ds_load_b32 v[vgprValuA_X0_I0_D5+0], v[vgprLocalReadAddrA] offset:1280 // L -> Reg lro=0 swapByteOffset=0 ti=256 vIdx=0 rIdx=5 oIdx=0 buffer=0 iui=0
_ds_load_b32 v[vgprValuA_X0_I0_D6+0], v[vgprLocalReadAddrA] offset:1536 // L -> Reg lro=0 swapByteOffset=0 ti=256 vIdx=0 rIdx=6 oIdx=0 buffer=0 iui=0
_ds_load_b32 v[vgprValuA_X0_I0_D7+0], v[vgprLocalReadAddrA] offset:1792 // L -> Reg lro=0 swapByteOffset=0 ti=256 vIdx=0 rIdx=7 oIdx=0 buffer=0 iui=0


/* local read prefetch b */

_ds_load_b64 v[vgprValuB_X0_I0+0:vgprValuB_X0_I0+0+1], v[vgprLocalReadAddrB] offset:0 // L -> Reg lro=0 swapByteOffset=0 ti=16 vIdx=0 rIdx=0 oIdx=0 buffer=0 iui=0
_ds_load_b64 v[vgprValuB_X0_I0+2:vgprValuB_X0_I0+2+1], v[vgprLocalReadAddrB] offset:1088 // L -> Reg lro=0 swapByteOffset=0 ti=16 vIdx=1 rIdx=0 oIdx=0 buffer=0 iui=0
_ds_load_b64 v[vgprValuB_X0_I0+4:vgprValuB_X0_I0+4+1], v[vgprLocalReadAddrB] offset:2176 // L -> Reg lro=0 swapByteOffset=0 ti=16 vIdx=2 rIdx=0 oIdx=0 buffer=0 iui=0
_ds_load_b64 v[vgprValuB_X0_I0+6:vgprValuB_X0_I0+6+1], v[vgprLocalReadAddrB] offset:3264 // L -> Reg lro=0 swapByteOffset=0 ti=16 vIdx=3 rIdx=0 oIdx=0 buffer=0 iui=0
_ds_load_b64 v[vgprValuB_X0_I0+8:vgprValuB_X0_I0+8+1], v[vgprLocalReadAddrB] offset:4352 // L -> Reg lro=0 swapByteOffset=0 ti=16 vIdx=4 rIdx=0 oIdx=0 buffer=0 iui=0
_ds_load_b64 v[vgprValuB_X0_I0+10:vgprValuB_X0_I0+10+1], v[vgprLocalReadAddrB] offset:5440 // L -> Reg lro=0 swapByteOffset=0 ti=16 vIdx=5 rIdx=0 oIdx=0 buffer=0 iui=0
_ds_load_b64 v[vgprValuB_X0_I0+12:vgprValuB_X0_I0+12+1], v[vgprLocalReadAddrB] offset:6528 // L -> Reg lro=0 swapByteOffset=0 ti=16 vIdx=6 rIdx=0 oIdx=0 buffer=0 iui=0
_ds_load_b64 v[vgprValuB_X0_I0+14:vgprValuB_X0_I0+14+1], v[vgprLocalReadAddrB] offset:7616 // L -> Reg lro=0 swapByteOffset=0 ti=16 vIdx=7 rIdx=0 oIdx=0 buffer=0 iui=0
_ds_load_b64 v[vgprValuB_X0_I0+16:vgprValuB_X0_I0+16+1], v[vgprLocalReadAddrB] offset:8704 // L -> Reg lro=0 swapByteOffset=0 ti=16 vIdx=8 rIdx=0 oIdx=0 buffer=0 iui=0
_ds_load_b64 v[vgprValuB_X0_I0+18:vgprValuB_X0_I0+18+1], v[vgprLocalReadAddrB] offset:9792 // L -> Reg lro=0 swapByteOffset=0 ti=16 vIdx=9 rIdx=0 oIdx=0 buffer=0 iui=0
_ds_load_b64 v[vgprValuB_X0_I0+20:vgprValuB_X0_I0+20+1], v[vgprLocalReadAddrB] offset:10880 // L -> Reg lro=0 swapByteOffset=0 ti=16 vIdx=10 rIdx=0 oIdx=0 buffer=0 iui=0
_ds_load_b64 v[vgprValuB_X0_I0+22:vgprValuB_X0_I0+22+1], v[vgprLocalReadAddrB] offset:11968 // L -> Reg lro=0 swapByteOffset=0 ti=16 vIdx=11 rIdx=0 oIdx=0 buffer=0 iui=0
_ds_load_b64 v[vgprValuB_X0_I0+24:vgprValuB_X0_I0+24+1], v[vgprLocalReadAddrB] offset:13056 // L -> Reg lro=0 swapByteOffset=0 ti=16 vIdx=12 rIdx=0 oIdx=0 buffer=0 iui=0
_ds_load_b64 v[vgprValuB_X0_I0+26:vgprValuB_X0_I0+26+1], v[vgprLocalReadAddrB] offset:14144 // L -> Reg lro=0 swapByteOffset=0 ti=16 vIdx=13 rIdx=0 oIdx=0 buffer=0 iui=0
_ds_load_b64 v[vgprValuB_X0_I0+28:vgprValuB_X0_I0+28+1], v[vgprLocalReadAddrB] offset:15232 // L -> Reg lro=0 swapByteOffset=0 ti=16 vIdx=14 rIdx=0 oIdx=0 buffer=0 iui=0
_ds_load_b64 v[vgprValuB_X0_I0+30:vgprValuB_X0_I0+30+1], v[vgprLocalReadAddrB] offset:16320 // L -> Reg lro=0 swapByteOffset=0 ti=16 vIdx=15 rIdx=0 oIdx=0 buffer=0 iui=0


/* local read inc a */

/* N/A, lro->8192 */
/* self.localReadDoCntA 1 self.localReadDoCntB 1 */


/* local read inc b */

/* N/A, lro->32 */
/* self.localReadDoCntA 1 self.localReadDoCntB 1 */


	;; [unrolled: 1-line block ×3, first 2 shown]
/******************************************/
/* Unrolled Loop(s) - Begin               */
/******************************************/

openLoopL_13:
s_cmp_le_u32 s[sgprLoopCounterL], 0x2              // LoopCounterL < EndCounter
s_cbranch_scc1 LoopEndL_evenexit_4                 // do not enter LoopL
LoopBeginL_1:


/******************************************/
/* Unrolled Loop 1/2 - Begin              */
/******************************************/

label_0014: // LoopCopy1 


/* Begin Each Unroll: Check VGPR.checkin for INT8 LW */


	;; [unrolled: 1-line block ×3, first 2 shown]
/* iter 0 (reset local read pointers iteration)  (swap local read pointers iteration)  */

/*  grEndMfmaIndex:18, lwStartMfmaIndex:32, lwEndMfmaIndex:96  */
/*  numMfmaForLR:29, barrierMfmaIndex:98, LocalWritePerMfma:0.300 */
/*  mfmaIndex:0  */
s_waitcnt lgkmcnt(0)                               // lgkmcnt=0 vmcnt=-1wait for prior local read local write old=0, new=0 newLW=0 newLR=0
/* pack scheduling: packAIdx:6, packBIdx:0 */
v_perm_b32 v[vgprValuA_X0_I0+0], v[vgprValuA_X0_I0_D1+0], v[vgprValuA_X0_I0_D0+0], s[sgprPackKForV0] // select K=01 for vector=0
v_perm_b32 v[vgprPackTemp], v[vgprValuA_X0_I0_D3+0], v[vgprValuA_X0_I0_D2+0], s[sgprPackKForV0] // select K=23 for vector=0
_v_lshl_or_b32 v[vgprValuA_X0_I0+0], v[vgprPackTemp], 0x10, v[vgprValuA_X0_I0+0] // pack two half Vgpr to one Vgpr
v_perm_b32 v[vgprValuA_X0_I0+1], v[vgprValuA_X0_I0_D5+0], v[vgprValuA_X0_I0_D4+0], s[sgprPackKForV0] // select K=45 for vector=0
v_perm_b32 v[vgprPackTemp], v[vgprValuA_X0_I0_D7+0], v[vgprValuA_X0_I0_D6+0], s[sgprPackKForV0] // select K=67 for vector=0
_v_lshl_or_b32 v[vgprValuA_X0_I0+1], v[vgprPackTemp], 0x10, v[vgprValuA_X0_I0+1] // pack two half Vgpr to one Vgpr
v_perm_b32 v[vgprValuA_X0_I0+2], v[vgprValuA_X0_I0_D1+0], v[vgprValuA_X0_I0_D0+0], s[sgprPackKForV1] // select K=01 for vector=1
v_perm_b32 v[vgprPackTemp], v[vgprValuA_X0_I0_D3+0], v[vgprValuA_X0_I0_D2+0], s[sgprPackKForV1] // select K=23 for vector=1
_v_lshl_or_b32 v[vgprValuA_X0_I0+2], v[vgprPackTemp], 0x10, v[vgprValuA_X0_I0+2] // pack two half Vgpr to one Vgpr
v_perm_b32 v[vgprValuA_X0_I0+3], v[vgprValuA_X0_I0_D5+0], v[vgprValuA_X0_I0_D4+0], s[sgprPackKForV1] // select K=45 for vector=1
v_perm_b32 v[vgprPackTemp], v[vgprValuA_X0_I0_D7+0], v[vgprValuA_X0_I0_D6+0], s[sgprPackKForV1] // select K=67 for vector=1
_v_lshl_or_b32 v[vgprValuA_X0_I0+3], v[vgprPackTemp], 0x10, v[vgprValuA_X0_I0+3] // pack two half Vgpr to one Vgpr
v_mfma_f32_16x16x32_bf8_fp8 a[0+0:3+0], v[vgprValuB_X0_I0+0+0+0:vgprValuB_X0_I0+0+0+0+1], v[vgprValuA_X0_I0+0+0+0:vgprValuA_X0_I0+0+0+0+1], a[0:3]
/*  mfmaIndex:1  */
_ds_load_b32 v[vgprValuA_X1_I0_D0+0], v[vgprLocalReadAddrA] offset:8448 // L -> Reg lro=8192 swapByteOffset=0 ti=256 vIdx=0 rIdx=0 oIdx=0 buffer=1 iui=0

/* global read inc A loopL */
s_cmp_eq_u32 s[sgprLoopCounterL], s[sgprStaggerUIter] // Is this the wrapIter?
/* pack scheduling: packAIdx:12, packBIdx:0 */
v_perm_b32 v[vgprValuA_X0_I0+4], v[vgprValuA_X0_I0_D1+0], v[vgprValuA_X0_I0_D0+0], s[sgprPackKForV2] // select K=01 for vector=2
v_perm_b32 v[vgprPackTemp], v[vgprValuA_X0_I0_D3+0], v[vgprValuA_X0_I0_D2+0], s[sgprPackKForV2] // select K=23 for vector=2
_v_lshl_or_b32 v[vgprValuA_X0_I0+4], v[vgprPackTemp], 0x10, v[vgprValuA_X0_I0+4] // pack two half Vgpr to one Vgpr
v_perm_b32 v[vgprValuA_X0_I0+5], v[vgprValuA_X0_I0_D5+0], v[vgprValuA_X0_I0_D4+0], s[sgprPackKForV2] // select K=45 for vector=2
v_perm_b32 v[vgprPackTemp], v[vgprValuA_X0_I0_D7+0], v[vgprValuA_X0_I0_D6+0], s[sgprPackKForV2] // select K=67 for vector=2
_v_lshl_or_b32 v[vgprValuA_X0_I0+5], v[vgprPackTemp], 0x10, v[vgprValuA_X0_I0+5] // pack two half Vgpr to one Vgpr
v_mfma_f32_16x16x32_bf8_fp8 a[4+0:7+0], v[vgprValuB_X0_I0+0+0+0:vgprValuB_X0_I0+0+0+0+1], v[vgprValuA_X0_I0+2+0+0:vgprValuA_X0_I0+2+0+0+1], a[4:7]
/*  mfmaIndex:2  */
_ds_load_b32 v[vgprValuA_X1_I0_D1+0], v[vgprLocalReadAddrA] offset:8704 // L -> Reg lro=8192 swapByteOffset=0 ti=256 vIdx=0 rIdx=1 oIdx=0 buffer=1 iui=0
s_cselect_b32 s80, s[sgprWrapUA+0], s[sgprGlobalReadIncsA+0] // incLower <- ?
/* pack scheduling: packAIdx:18, packBIdx:0 */
v_perm_b32 v[vgprValuA_X0_I0+6], v[vgprValuA_X0_I0_D1+0], v[vgprValuA_X0_I0_D0+0], s[sgprPackKForV3] // select K=01 for vector=3
v_perm_b32 v[vgprPackTemp], v[vgprValuA_X0_I0_D3+0], v[vgprValuA_X0_I0_D2+0], s[sgprPackKForV3] // select K=23 for vector=3
_v_lshl_or_b32 v[vgprValuA_X0_I0+6], v[vgprPackTemp], 0x10, v[vgprValuA_X0_I0+6] // pack two half Vgpr to one Vgpr
v_perm_b32 v[vgprValuA_X0_I0+7], v[vgprValuA_X0_I0_D5+0], v[vgprValuA_X0_I0_D4+0], s[sgprPackKForV3] // select K=45 for vector=3
v_perm_b32 v[vgprPackTemp], v[vgprValuA_X0_I0_D7+0], v[vgprValuA_X0_I0_D6+0], s[sgprPackKForV3] // select K=67 for vector=3
_v_lshl_or_b32 v[vgprValuA_X0_I0+7], v[vgprPackTemp], 0x10, v[vgprValuA_X0_I0+7] // pack two half Vgpr to one Vgpr
v_mfma_f32_16x16x32_bf8_fp8 a[8+0:11+0], v[vgprValuB_X0_I0+0+0+0:vgprValuB_X0_I0+0+0+0+1], v[vgprValuA_X0_I0+4+0+0:vgprValuA_X0_I0+4+0+0+1], a[8:11]
/*  mfmaIndex:3  */
_ds_load_b32 v[vgprValuA_X1_I0_D2+0], v[vgprLocalReadAddrA] offset:8960 // L -> Reg lro=8192 swapByteOffset=0 ti=256 vIdx=0 rIdx=2 oIdx=0 buffer=1 iui=0
s_cselect_b32 s81, s[sgprWrapUA+1], 0              // incUpper <- ?
v_mfma_f32_16x16x32_bf8_fp8 a[12+0:15+0], v[vgprValuB_X0_I0+0+0+0:vgprValuB_X0_I0+0+0+0+1], v[vgprValuA_X0_I0+6+0+0:vgprValuA_X0_I0+6+0+0+1], a[12:15]
/*  mfmaIndex:4  */
_ds_load_b32 v[vgprValuA_X1_I0_D3+0], v[vgprLocalReadAddrA] offset:9216 // L -> Reg lro=8192 swapByteOffset=0 ti=256 vIdx=0 rIdx=3 oIdx=0 buffer=1 iui=0
s_add_u32 s[sgprSrdA+0], s[sgprSrdA+0], s80        // gra SRD += inc(lower)
v_mfma_f32_16x16x32_bf8_fp8 a[28+0:31+0], v[vgprValuB_X0_I0+2+0+0:vgprValuB_X0_I0+2+0+0+1], v[vgprValuA_X0_I0+6+0+0:vgprValuA_X0_I0+6+0+0+1], a[28:31]
/*  mfmaIndex:5  */
_ds_load_b32 v[vgprValuA_X1_I0_D4+0], v[vgprLocalReadAddrA] offset:9472 // L -> Reg lro=8192 swapByteOffset=0 ti=256 vIdx=0 rIdx=4 oIdx=0 buffer=1 iui=0
s_addc_u32  s[sgprSrdA+1], s[sgprSrdA+1], s81      // gra SRD += inc(upper)
v_mfma_f32_16x16x32_bf8_fp8 a[24+0:27+0], v[vgprValuB_X0_I0+2+0+0:vgprValuB_X0_I0+2+0+0+1], v[vgprValuA_X0_I0+4+0+0:vgprValuA_X0_I0+4+0+0+1], a[24:27]
/*  mfmaIndex:6  */
_ds_load_b32 v[vgprValuA_X1_I0_D5+0], v[vgprLocalReadAddrA] offset:9728 // L -> Reg lro=8192 swapByteOffset=0 ti=256 vIdx=0 rIdx=5 oIdx=0 buffer=1 iui=0
s_sub_u32 s[sgprShadowLimitA+0], s[sgprShadowLimitA+0], s80 // limit -= inc)
v_mfma_f32_16x16x32_bf8_fp8 a[20+0:23+0], v[vgprValuB_X0_I0+2+0+0:vgprValuB_X0_I0+2+0+0+1], v[vgprValuA_X0_I0+2+0+0:vgprValuA_X0_I0+2+0+0+1], a[20:23]
/*  mfmaIndex:7  */
_ds_load_b32 v[vgprValuA_X1_I0_D6+0], v[vgprLocalReadAddrA] offset:9984 // L -> Reg lro=8192 swapByteOffset=0 ti=256 vIdx=0 rIdx=6 oIdx=0 buffer=1 iui=0
s_subb_u32 s[sgprShadowLimitA+1], s[sgprShadowLimitA+1], s81 // limit -= inc)
v_mfma_f32_16x16x32_bf8_fp8 a[16+0:19+0], v[vgprValuB_X0_I0+2+0+0:vgprValuB_X0_I0+2+0+0+1], v[vgprValuA_X0_I0+0+0+0:vgprValuA_X0_I0+0+0+0+1], a[16:19]
/*  mfmaIndex:8  */
_ds_load_b32 v[vgprValuA_X1_I0_D7+0], v[vgprLocalReadAddrA] offset:10240 // L -> Reg lro=8192 swapByteOffset=0 ti=256 vIdx=0 rIdx=7 oIdx=0 buffer=1 iui=0
s_cmp_eq_u32 s[sgprShadowLimitA+1], 0              // are we within 2^32?
v_mfma_f32_16x16x32_bf8_fp8 a[32+0:35+0], v[vgprValuB_X0_I0+4+0+0:vgprValuB_X0_I0+4+0+0+1], v[vgprValuA_X0_I0+0+0+0:vgprValuA_X0_I0+0+0+0+1], a[32:35]
/*  mfmaIndex:9  */
_ds_load_b64 v[vgprValuB_X1_I0+0:vgprValuB_X1_I0+0+1], v[vgprLocalReadAddrB] offset:32 // L -> Reg lro=32 swapByteOffset=0 ti=16 vIdx=0 rIdx=0 oIdx=0 buffer=1 iui=0
s_cselect_b32 s[sgprSrdA+2], s[sgprShadowLimitA+0], BufferLimitA // Move shadow to real if we are within 2^32
v_mfma_f32_16x16x32_bf8_fp8 a[36+0:39+0], v[vgprValuB_X0_I0+4+0+0:vgprValuB_X0_I0+4+0+0+1], v[vgprValuA_X0_I0+2+0+0:vgprValuA_X0_I0+2+0+0+1], a[36:39]
/*  mfmaIndex:10  */
_ds_load_b64 v[vgprValuB_X1_I0+2:vgprValuB_X1_I0+2+1], v[vgprLocalReadAddrB] offset:1120 // L -> Reg lro=32 swapByteOffset=0 ti=16 vIdx=1 rIdx=0 oIdx=0 buffer=1 iui=0

/* global read inc B loopL */
s_cmp_eq_u32 s[sgprLoopCounterL], s[sgprStaggerUIter] // Is this the wrapIter?
v_mfma_f32_16x16x32_bf8_fp8 a[40+0:43+0], v[vgprValuB_X0_I0+4+0+0:vgprValuB_X0_I0+4+0+0+1], v[vgprValuA_X0_I0+4+0+0:vgprValuA_X0_I0+4+0+0+1], a[40:43]
/*  mfmaIndex:11  */
_ds_load_b64 v[vgprValuB_X1_I0+4:vgprValuB_X1_I0+4+1], v[vgprLocalReadAddrB] offset:2208 // L -> Reg lro=32 swapByteOffset=0 ti=16 vIdx=2 rIdx=0 oIdx=0 buffer=1 iui=0
s_cselect_b32 s80, s[sgprWrapUB+0], s[sgprGlobalReadIncsB+0] // incLower <- ?
v_mfma_f32_16x16x32_bf8_fp8 a[44+0:47+0], v[vgprValuB_X0_I0+4+0+0:vgprValuB_X0_I0+4+0+0+1], v[vgprValuA_X0_I0+6+0+0:vgprValuA_X0_I0+6+0+0+1], a[44:47]
/*  mfmaIndex:12  */
_ds_load_b64 v[vgprValuB_X1_I0+6:vgprValuB_X1_I0+6+1], v[vgprLocalReadAddrB] offset:3296 // L -> Reg lro=32 swapByteOffset=0 ti=16 vIdx=3 rIdx=0 oIdx=0 buffer=1 iui=0
s_cselect_b32 s81, s[sgprWrapUB+1], 0              // incUpper <- ?
v_mfma_f32_16x16x32_bf8_fp8 a[60+0:63+0], v[vgprValuB_X0_I0+6+0+0:vgprValuB_X0_I0+6+0+0+1], v[vgprValuA_X0_I0+6+0+0:vgprValuA_X0_I0+6+0+0+1], a[60:63]
/*  mfmaIndex:13  */
_ds_load_b64 v[vgprValuB_X1_I0+8:vgprValuB_X1_I0+8+1], v[vgprLocalReadAddrB] offset:4384 // L -> Reg lro=32 swapByteOffset=0 ti=16 vIdx=4 rIdx=0 oIdx=0 buffer=1 iui=0
s_add_u32 s[sgprSrdB+0], s[sgprSrdB+0], s80        // gra SRD += inc(lower)
v_mfma_f32_16x16x32_bf8_fp8 a[56+0:59+0], v[vgprValuB_X0_I0+6+0+0:vgprValuB_X0_I0+6+0+0+1], v[vgprValuA_X0_I0+4+0+0:vgprValuA_X0_I0+4+0+0+1], a[56:59]
/*  mfmaIndex:14  */
_ds_load_b64 v[vgprValuB_X1_I0+10:vgprValuB_X1_I0+10+1], v[vgprLocalReadAddrB] offset:5472 // L -> Reg lro=32 swapByteOffset=0 ti=16 vIdx=5 rIdx=0 oIdx=0 buffer=1 iui=0
s_addc_u32  s[sgprSrdB+1], s[sgprSrdB+1], s81      // gra SRD += inc(upper)
v_mfma_f32_16x16x32_bf8_fp8 a[52+0:55+0], v[vgprValuB_X0_I0+6+0+0:vgprValuB_X0_I0+6+0+0+1], v[vgprValuA_X0_I0+2+0+0:vgprValuA_X0_I0+2+0+0+1], a[52:55]
/*  mfmaIndex:15  */
_ds_load_b64 v[vgprValuB_X1_I0+12:vgprValuB_X1_I0+12+1], v[vgprLocalReadAddrB] offset:6560 // L -> Reg lro=32 swapByteOffset=0 ti=16 vIdx=6 rIdx=0 oIdx=0 buffer=1 iui=0
s_sub_u32 s[sgprShadowLimitB+0], s[sgprShadowLimitB+0], s80 // limit -= inc)
v_mfma_f32_16x16x32_bf8_fp8 a[48+0:51+0], v[vgprValuB_X0_I0+6+0+0:vgprValuB_X0_I0+6+0+0+1], v[vgprValuA_X0_I0+0+0+0:vgprValuA_X0_I0+0+0+0+1], a[48:51]
/*  mfmaIndex:16  */
_ds_load_b64 v[vgprValuB_X1_I0+14:vgprValuB_X1_I0+14+1], v[vgprLocalReadAddrB] offset:7648 // L -> Reg lro=32 swapByteOffset=0 ti=16 vIdx=7 rIdx=0 oIdx=0 buffer=1 iui=0
s_subb_u32 s[sgprShadowLimitB+1], s[sgprShadowLimitB+1], s81 // limit -= inc)
v_mfma_f32_16x16x32_bf8_fp8 a[64+0:67+0], v[vgprValuB_X0_I0+8+0+0:vgprValuB_X0_I0+8+0+0+1], v[vgprValuA_X0_I0+0+0+0:vgprValuA_X0_I0+0+0+0+1], a[64:67]
/*  mfmaIndex:17  */
_ds_load_b64 v[vgprValuB_X1_I0+16:vgprValuB_X1_I0+16+1], v[vgprLocalReadAddrB] offset:8736 // L -> Reg lro=32 swapByteOffset=0 ti=16 vIdx=8 rIdx=0 oIdx=0 buffer=1 iui=0
s_cmp_eq_u32 s[sgprShadowLimitB+1], 0              // are we within 2^32?
v_mfma_f32_16x16x32_bf8_fp8 a[68+0:71+0], v[vgprValuB_X0_I0+8+0+0:vgprValuB_X0_I0+8+0+0+1], v[vgprValuA_X0_I0+2+0+0:vgprValuA_X0_I0+2+0+0+1], a[68:71]
/*  mfmaIndex:18  */
_ds_load_b64 v[vgprValuB_X1_I0+18:vgprValuB_X1_I0+18+1], v[vgprLocalReadAddrB] offset:9824 // L -> Reg lro=32 swapByteOffset=0 ti=16 vIdx=9 rIdx=0 oIdx=0 buffer=1 iui=0
s_cselect_b32 s[sgprSrdB+2], s[sgprShadowLimitB+0], BufferLimitB // Move shadow to real if we are within 2^32
v_mfma_f32_16x16x32_bf8_fp8 a[72+0:75+0], v[vgprValuB_X0_I0+8+0+0:vgprValuB_X0_I0+8+0+0+1], v[vgprValuA_X0_I0+4+0+0:vgprValuA_X0_I0+4+0+0+1], a[72:75]
/*  mfmaIndex:19  */
_ds_load_b64 v[vgprValuB_X1_I0+20:vgprValuB_X1_I0+20+1], v[vgprLocalReadAddrB] offset:10912 // L -> Reg lro=32 swapByteOffset=0 ti=16 vIdx=10 rIdx=0 oIdx=0 buffer=1 iui=0
v_mfma_f32_16x16x32_bf8_fp8 a[76+0:79+0], v[vgprValuB_X0_I0+8+0+0:vgprValuB_X0_I0+8+0+0+1], v[vgprValuA_X0_I0+6+0+0:vgprValuA_X0_I0+6+0+0+1], a[76:79]
/*  mfmaIndex:20  */
_ds_load_b64 v[vgprValuB_X1_I0+22:vgprValuB_X1_I0+22+1], v[vgprLocalReadAddrB] offset:12000 // L -> Reg lro=32 swapByteOffset=0 ti=16 vIdx=11 rIdx=0 oIdx=0 buffer=1 iui=0
	;; [unrolled: 3-line block ×6, first 2 shown]
v_mfma_f32_16x16x32_bf8_fp8 a[96+0:99+0], v[vgprValuB_X0_I0+12+0+0:vgprValuB_X0_I0+12+0+0+1], v[vgprValuA_X0_I0+0+0+0:vgprValuA_X0_I0+0+0+0+1], a[96:99]
/*  mfmaIndex:25  */
/* localReadsVacancy: latencyLeft 2 */
v_mfma_f32_16x16x32_bf8_fp8 a[100+0:103+0], v[vgprValuB_X0_I0+12+0+0:vgprValuB_X0_I0+12+0+0+1], v[vgprValuA_X0_I0+2+0+0:vgprValuA_X0_I0+2+0+0+1], a[100:103]
/*  mfmaIndex:26  */
/* localReadsVacancy: latencyLeft 2 */
	;; [unrolled: 3-line block ×7, first 2 shown]
/* 1 LDS buffer: read-sync-write */
s_waitcnt lgkmcnt(0)                               // 
s_barrier                                          // 
v_mfma_f32_16x16x32_bf8_fp8 a[112+0:115+0], v[vgprValuB_X0_I0+14+0+0:vgprValuB_X0_I0+14+0+0+1], v[vgprValuA_X0_I0+0+0+0:vgprValuA_X0_I0+0+0+0+1], a[112:115]
/*  mfmaIndex:32  */
s_setprio 3                                        // store optimization
/* sched write - iter 0 writesPerItem=1 */
s_waitcnt vmcnt(0)                                 // lgkmcnt=-1 vmcnt=0wait for global read before writing to local
_ds_store_b128 v[vgprLocalWriteAddrA], v[vgprG2LA+0:vgprG2LA+0+3] offset:0 // lwoA_0_0_0_0 = (0*LSCA) + (0*LSPA)(*MT0I+PAD) = 0
v_mfma_f32_16x16x32_bf8_fp8 a[128+0:131+0], v[vgprValuB_X0_I0+16+0+0:vgprValuB_X0_I0+16+0+0+1], v[vgprValuA_X0_I0+0+0+0:vgprValuA_X0_I0+0+0+0+1], a[128:131]
/*  mfmaIndex:33  */
_buffer_load_b128 v[vgprG2LA+0:vgprG2LA+0+3], v[vgprGlobalReadOffsetA+0], s[sgprSrdA:sgprSrdA+3], 0, offen offset:0 // G -> Reg 0_0_0_0
v_mfma_f32_16x16x32_bf8_fp8 a[132+0:135+0], v[vgprValuB_X0_I0+16+0+0:vgprValuB_X0_I0+16+0+0+1], v[vgprValuA_X0_I0+2+0+0:vgprValuA_X0_I0+2+0+0+1], a[132:135]
/*  mfmaIndex:34  */
v_mfma_f32_16x16x32_bf8_fp8 a[136+0:139+0], v[vgprValuB_X0_I0+16+0+0:vgprValuB_X0_I0+16+0+0+1], v[vgprValuA_X0_I0+4+0+0:vgprValuA_X0_I0+4+0+0+1], a[136:139]
/*  mfmaIndex:35  */
/* sched write - iter 0 writesPerItem=1 */
s_waitcnt vmcnt(0)                                 // lgkmcnt=-1 vmcnt=0wait for global read before writing to local
_ds_store_b128 v[vgprLocalWriteAddrA], v[vgprG2LA+4:vgprG2LA+4+3] offset:1024 // lwoA_0_0_1_0 = (0*LSCA) + (1*LSPA)(*MT0I+PAD) = 1024
v_mfma_f32_16x16x32_bf8_fp8 a[140+0:143+0], v[vgprValuB_X0_I0+16+0+0:vgprValuB_X0_I0+16+0+0+1], v[vgprValuA_X0_I0+6+0+0:vgprValuA_X0_I0+6+0+0+1], a[140:143]
/*  mfmaIndex:36  */
_buffer_load_b128 v[vgprG2LA+4:vgprG2LA+4+3], v[vgprGlobalReadOffsetA+0], s[sgprSrdA:sgprSrdA+3], s[sgprScalarGlobalReadOffsetA+0], offen offset:0 // G -> Reg 0_0_1_0
v_mfma_f32_16x16x32_bf8_fp8 a[156+0:159+0], v[vgprValuB_X0_I0+18+0+0:vgprValuB_X0_I0+18+0+0+1], v[vgprValuA_X0_I0+6+0+0:vgprValuA_X0_I0+6+0+0+1], a[156:159]
/*  mfmaIndex:37  */
v_mfma_f32_16x16x32_bf8_fp8 a[152+0:155+0], v[vgprValuB_X0_I0+18+0+0:vgprValuB_X0_I0+18+0+0+1], v[vgprValuA_X0_I0+4+0+0:vgprValuA_X0_I0+4+0+0+1], a[152:155]
/*  mfmaIndex:38  */
/* sched write - iter 0 writesPerItem=1 */
s_waitcnt vmcnt(0)                                 // lgkmcnt=-1 vmcnt=0wait for global read before writing to local
_ds_store_b128 v[vgprLocalWriteAddrA], v[vgprG2LA+8:vgprG2LA+8+3] offset:2112 // lwoA_0_0_2_0 = (0*LSCA) + (2*LSPA)(*MT0I+PAD) = 2112
v_mfma_f32_16x16x32_bf8_fp8 a[148+0:151+0], v[vgprValuB_X0_I0+18+0+0:vgprValuB_X0_I0+18+0+0+1], v[vgprValuA_X0_I0+2+0+0:vgprValuA_X0_I0+2+0+0+1], a[148:151]
/*  mfmaIndex:39  */
_buffer_load_b128 v[vgprG2LA+8:vgprG2LA+8+3], v[vgprGlobalReadOffsetA+0], s[sgprSrdA:sgprSrdA+3], s[sgprScalarGlobalReadOffsetA+1], offen offset:0 // G -> Reg 0_0_2_0
v_mfma_f32_16x16x32_bf8_fp8 a[144+0:147+0], v[vgprValuB_X0_I0+18+0+0:vgprValuB_X0_I0+18+0+0+1], v[vgprValuA_X0_I0+0+0+0:vgprValuA_X0_I0+0+0+0+1], a[144:147]
/*  mfmaIndex:40  */
v_mfma_f32_16x16x32_bf8_fp8 a[160+0:163+0], v[vgprValuB_X0_I0+20+0+0:vgprValuB_X0_I0+20+0+0+1], v[vgprValuA_X0_I0+0+0+0:vgprValuA_X0_I0+0+0+0+1], a[160:163]
/*  mfmaIndex:41  */
	;; [unrolled: 2-line block ×3, first 2 shown]
/* sched write - iter 0 writesPerItem=1 */
s_waitcnt vmcnt(0)                                 // lgkmcnt=-1 vmcnt=0wait for global read before writing to local
_ds_store_b128 v[vgprLocalWriteAddrA], v[vgprG2LA+12:vgprG2LA+12+3] offset:3136 // lwoA_0_0_3_0 = (0*LSCA) + (3*LSPA)(*MT0I+PAD) = 3136
v_mfma_f32_16x16x32_bf8_fp8 a[168+0:171+0], v[vgprValuB_X0_I0+20+0+0:vgprValuB_X0_I0+20+0+0+1], v[vgprValuA_X0_I0+4+0+0:vgprValuA_X0_I0+4+0+0+1], a[168:171]
/*  mfmaIndex:43  */
_buffer_load_b128 v[vgprG2LA+12:vgprG2LA+12+3], v[vgprGlobalReadOffsetA+0], s[sgprSrdA:sgprSrdA+3], s[sgprScalarGlobalReadOffsetA+2], offen offset:0 // G -> Reg 0_0_3_0
v_mfma_f32_16x16x32_bf8_fp8 a[172+0:175+0], v[vgprValuB_X0_I0+20+0+0:vgprValuB_X0_I0+20+0+0+1], v[vgprValuA_X0_I0+6+0+0:vgprValuA_X0_I0+6+0+0+1], a[172:175]
/*  mfmaIndex:44  */
v_mfma_f32_16x16x32_bf8_fp8 a[188+0:191+0], v[vgprValuB_X0_I0+22+0+0:vgprValuB_X0_I0+22+0+0+1], v[vgprValuA_X0_I0+6+0+0:vgprValuA_X0_I0+6+0+0+1], a[188:191]
/*  mfmaIndex:45  */
/* sched write - iter 0 writesPerItem=1 */
s_waitcnt vmcnt(0)                                 // lgkmcnt=-1 vmcnt=0wait for global read before writing to local
_ds_store_b32 v[vgprLocalWriteAddrB], v[vgprG2LB+0] offset:0 // lwoB_0_0_0_0 = (0*LSCB)*(MT1J+PAD) + (0*LSPB) = 0
v_mfma_f32_16x16x32_bf8_fp8 a[184+0:187+0], v[vgprValuB_X0_I0+22+0+0:vgprValuB_X0_I0+22+0+0+1], v[vgprValuA_X0_I0+4+0+0:vgprValuA_X0_I0+4+0+0+1], a[184:187]
/*  mfmaIndex:46  */
_buffer_load_b32 v[vgprG2LB+0], v[vgprGlobalReadOffsetB+0], s[sgprSrdB:sgprSrdB+3], 0, offen offset:0 // G -> Reg 0_0_0_0
v_mfma_f32_16x16x32_bf8_fp8 a[180+0:183+0], v[vgprValuB_X0_I0+22+0+0:vgprValuB_X0_I0+22+0+0+1], v[vgprValuA_X0_I0+2+0+0:vgprValuA_X0_I0+2+0+0+1], a[180:183]
/*  mfmaIndex:47  */
v_mfma_f32_16x16x32_bf8_fp8 a[176+0:179+0], v[vgprValuB_X0_I0+22+0+0:vgprValuB_X0_I0+22+0+0+1], v[vgprValuA_X0_I0+0+0+0:vgprValuA_X0_I0+0+0+0+1], a[176:179]
/*  mfmaIndex:48  */
/* sched write - iter 0 writesPerItem=1 */
s_waitcnt vmcnt(0)                                 // lgkmcnt=-1 vmcnt=0wait for global read before writing to local
_ds_store_b32 v[vgprLocalWriteAddrB], v[vgprG2LB+1] offset:1088 // lwoB_0_0_1_0 = (0*LSCB)*(MT1J+PAD) + (1*LSPB) = 1088
v_mfma_f32_16x16x32_bf8_fp8 a[192+0:195+0], v[vgprValuB_X0_I0+24+0+0:vgprValuB_X0_I0+24+0+0+1], v[vgprValuA_X0_I0+0+0+0:vgprValuA_X0_I0+0+0+0+1], a[192:195]
/*  mfmaIndex:49  */
_buffer_load_b32 v[vgprG2LB+1], v[vgprGlobalReadOffsetB+0], s[sgprSrdB:sgprSrdB+3], s[sgprScalarGlobalReadOffsetB+0], offen offset:0 // G -> Reg 0_0_1_0
v_mfma_f32_16x16x32_bf8_fp8 a[196+0:199+0], v[vgprValuB_X0_I0+24+0+0:vgprValuB_X0_I0+24+0+0+1], v[vgprValuA_X0_I0+2+0+0:vgprValuA_X0_I0+2+0+0+1], a[196:199]
/*  mfmaIndex:50  */
v_mfma_f32_16x16x32_bf8_fp8 a[200+0:203+0], v[vgprValuB_X0_I0+24+0+0:vgprValuB_X0_I0+24+0+0+1], v[vgprValuA_X0_I0+4+0+0:vgprValuA_X0_I0+4+0+0+1], a[200:203]
/*  mfmaIndex:51  */
	;; [unrolled: 2-line block ×3, first 2 shown]
/* sched write - iter 0 writesPerItem=1 */
s_waitcnt vmcnt(0)                                 // lgkmcnt=-1 vmcnt=0wait for global read before writing to local
_ds_store_b32 v[vgprLocalWriteAddrB], v[vgprG2LB+2] offset:2176 // lwoB_0_0_2_0 = (0*LSCB)*(MT1J+PAD) + (2*LSPB) = 2176
v_mfma_f32_16x16x32_bf8_fp8 a[220+0:223+0], v[vgprValuB_X0_I0+26+0+0:vgprValuB_X0_I0+26+0+0+1], v[vgprValuA_X0_I0+6+0+0:vgprValuA_X0_I0+6+0+0+1], a[220:223]
/*  mfmaIndex:53  */
_buffer_load_b32 v[vgprG2LB+2], v[vgprGlobalReadOffsetB+0], s[sgprSrdB:sgprSrdB+3], s[sgprScalarGlobalReadOffsetB+1], offen offset:0 // G -> Reg 0_0_2_0
v_mfma_f32_16x16x32_bf8_fp8 a[216+0:219+0], v[vgprValuB_X0_I0+26+0+0:vgprValuB_X0_I0+26+0+0+1], v[vgprValuA_X0_I0+4+0+0:vgprValuA_X0_I0+4+0+0+1], a[216:219]
/*  mfmaIndex:54  */
v_mfma_f32_16x16x32_bf8_fp8 a[212+0:215+0], v[vgprValuB_X0_I0+26+0+0:vgprValuB_X0_I0+26+0+0+1], v[vgprValuA_X0_I0+2+0+0:vgprValuA_X0_I0+2+0+0+1], a[212:215]
/*  mfmaIndex:55  */
/* sched write - iter 0 writesPerItem=1 */
s_waitcnt vmcnt(0)                                 // lgkmcnt=-1 vmcnt=0wait for global read before writing to local
_ds_store_b32 v[vgprLocalWriteAddrB], v[vgprG2LB+3] offset:3264 // lwoB_0_0_3_0 = (0*LSCB)*(MT1J+PAD) + (3*LSPB) = 3264
v_mfma_f32_16x16x32_bf8_fp8 a[208+0:211+0], v[vgprValuB_X0_I0+26+0+0:vgprValuB_X0_I0+26+0+0+1], v[vgprValuA_X0_I0+0+0+0:vgprValuA_X0_I0+0+0+0+1], a[208:211]
/*  mfmaIndex:56  */
_buffer_load_b32 v[vgprG2LB+3], v[vgprGlobalReadOffsetB+0], s[sgprSrdB:sgprSrdB+3], s[sgprScalarGlobalReadOffsetB+2], offen offset:0 // G -> Reg 0_0_3_0
v_mfma_f32_16x16x32_bf8_fp8 a[224+0:227+0], v[vgprValuB_X0_I0+28+0+0:vgprValuB_X0_I0+28+0+0+1], v[vgprValuA_X0_I0+0+0+0:vgprValuA_X0_I0+0+0+0+1], a[224:227]
/*  mfmaIndex:57  */
v_mfma_f32_16x16x32_bf8_fp8 a[228+0:231+0], v[vgprValuB_X0_I0+28+0+0:vgprValuB_X0_I0+28+0+0+1], v[vgprValuA_X0_I0+2+0+0:vgprValuA_X0_I0+2+0+0+1], a[228:231]
/*  mfmaIndex:58  */
/* sched write - iter 0 writesPerItem=1 */
s_waitcnt vmcnt(0)                                 // lgkmcnt=-1 vmcnt=0wait for global read before writing to local
_ds_store_b32 v[vgprLocalWriteAddrB], v[vgprG2LB+4] offset:4352 // lwoB_0_0_4_0 = (0*LSCB)*(MT1J+PAD) + (4*LSPB) = 4352
v_mfma_f32_16x16x32_bf8_fp8 a[232+0:235+0], v[vgprValuB_X0_I0+28+0+0:vgprValuB_X0_I0+28+0+0+1], v[vgprValuA_X0_I0+4+0+0:vgprValuA_X0_I0+4+0+0+1], a[232:235]
/*  mfmaIndex:59  */
_buffer_load_b32 v[vgprG2LB+4], v[vgprGlobalReadOffsetB+0], s[sgprSrdB:sgprSrdB+3], s[sgprScalarGlobalReadOffsetB+3], offen offset:0 // G -> Reg 0_0_4_0
v_mfma_f32_16x16x32_bf8_fp8 a[236+0:239+0], v[vgprValuB_X0_I0+28+0+0:vgprValuB_X0_I0+28+0+0+1], v[vgprValuA_X0_I0+6+0+0:vgprValuA_X0_I0+6+0+0+1], a[236:239]
/*  mfmaIndex:60  */
v_mfma_f32_16x16x32_bf8_fp8 a[252+0:255+0], v[vgprValuB_X0_I0+30+0+0:vgprValuB_X0_I0+30+0+0+1], v[vgprValuA_X0_I0+6+0+0:vgprValuA_X0_I0+6+0+0+1], a[252:255]
/*  mfmaIndex:61  */
	;; [unrolled: 2-line block ×3, first 2 shown]
/* sched write - iter 0 writesPerItem=1 */
s_waitcnt vmcnt(0)                                 // lgkmcnt=-1 vmcnt=0wait for global read before writing to local
_ds_store_b32 v[vgprLocalWriteAddrB], v[vgprG2LB+5] offset:5440 // lwoB_0_0_5_0 = (0*LSCB)*(MT1J+PAD) + (5*LSPB) = 5440
v_mfma_f32_16x16x32_bf8_fp8 a[244+0:247+0], v[vgprValuB_X0_I0+30+0+0:vgprValuB_X0_I0+30+0+0+1], v[vgprValuA_X0_I0+2+0+0:vgprValuA_X0_I0+2+0+0+1], a[244:247]
/*  mfmaIndex:63  */
_buffer_load_b32 v[vgprG2LB+5], v[vgprGlobalReadOffsetB+0], s[sgprSrdB:sgprSrdB+3], s[sgprScalarGlobalReadOffsetB+4], offen offset:0 // G -> Reg 0_0_5_0

/* local read swap offsets a */

/* local read swap offsets b */

/* local read init pointers a */

/* localReadInitPointers */

/* local read init pointers b */

/* localReadInitPointers */
v_mfma_f32_16x16x32_bf8_fp8 a[240+0:243+0], v[vgprValuB_X0_I0+30+0+0:vgprValuB_X0_I0+30+0+0+1], v[vgprValuA_X0_I0+0+0+0:vgprValuA_X0_I0+0+0+0+1], a[240:243]
/* numPrefetchIter=0 */
/* dataAtIterA=-1 numReadsIterA=1 skipReadsIterA=1 readsPerIterA=8 */
/* dataAtIterB=-1 numReadsIterB=1 skipReadsIterB=1 readsPerIterB=16 */


/* iter 1 (swap and reset local write pointers iteration)  */

/*  grEndMfmaIndex:18, lwStartMfmaIndex:32, lwEndMfmaIndex:96  */
/*  numMfmaForLR:29, barrierMfmaIndex:98, LocalWritePerMfma:0.300 */
/*  mfmaIndex:64  */
/* pack scheduling: packAIdx:6, packBIdx:0 */
v_perm_b32 v[vgprValuA_X1_I0+0], v[vgprValuA_X1_I0_D1+0], v[vgprValuA_X1_I0_D0+0], s[sgprPackKForV0] // select K=01 for vector=0
v_perm_b32 v[vgprPackTemp], v[vgprValuA_X1_I0_D3+0], v[vgprValuA_X1_I0_D2+0], s[sgprPackKForV0] // select K=23 for vector=0
_v_lshl_or_b32 v[vgprValuA_X1_I0+0], v[vgprPackTemp], 0x10, v[vgprValuA_X1_I0+0] // pack two half Vgpr to one Vgpr
v_perm_b32 v[vgprValuA_X1_I0+1], v[vgprValuA_X1_I0_D5+0], v[vgprValuA_X1_I0_D4+0], s[sgprPackKForV0] // select K=45 for vector=0
v_perm_b32 v[vgprPackTemp], v[vgprValuA_X1_I0_D7+0], v[vgprValuA_X1_I0_D6+0], s[sgprPackKForV0] // select K=67 for vector=0
_v_lshl_or_b32 v[vgprValuA_X1_I0+1], v[vgprPackTemp], 0x10, v[vgprValuA_X1_I0+1] // pack two half Vgpr to one Vgpr
v_perm_b32 v[vgprValuA_X1_I0+2], v[vgprValuA_X1_I0_D1+0], v[vgprValuA_X1_I0_D0+0], s[sgprPackKForV1] // select K=01 for vector=1
v_perm_b32 v[vgprPackTemp], v[vgprValuA_X1_I0_D3+0], v[vgprValuA_X1_I0_D2+0], s[sgprPackKForV1] // select K=23 for vector=1
_v_lshl_or_b32 v[vgprValuA_X1_I0+2], v[vgprPackTemp], 0x10, v[vgprValuA_X1_I0+2] // pack two half Vgpr to one Vgpr
v_perm_b32 v[vgprValuA_X1_I0+3], v[vgprValuA_X1_I0_D5+0], v[vgprValuA_X1_I0_D4+0], s[sgprPackKForV1] // select K=45 for vector=1
v_perm_b32 v[vgprPackTemp], v[vgprValuA_X1_I0_D7+0], v[vgprValuA_X1_I0_D6+0], s[sgprPackKForV1] // select K=67 for vector=1
_v_lshl_or_b32 v[vgprValuA_X1_I0+3], v[vgprPackTemp], 0x10, v[vgprValuA_X1_I0+3] // pack two half Vgpr to one Vgpr
v_mfma_f32_16x16x32_bf8_fp8 a[0+0:3+0], v[vgprValuB_X1_I0+0+0+0:vgprValuB_X1_I0+0+0+0+1], v[vgprValuA_X1_I0+0+0+0:vgprValuA_X1_I0+0+0+0+1], a[0:3]
/*  mfmaIndex:65  */
/* sched write - iter 1 writesPerItem=1 */
s_waitcnt vmcnt(0)                                 // lgkmcnt=-1 vmcnt=0wait for global read before writing to local
_ds_store_b32 v[vgprLocalWriteAddrB], v[vgprG2LB+6] offset:6528 // lwoB_0_0_6_0 = (0*LSCB)*(MT1J+PAD) + (6*LSPB) = 6528
/* pack scheduling: packAIdx:12, packBIdx:0 */
v_perm_b32 v[vgprValuA_X1_I0+4], v[vgprValuA_X1_I0_D1+0], v[vgprValuA_X1_I0_D0+0], s[sgprPackKForV2] // select K=01 for vector=2
v_perm_b32 v[vgprPackTemp], v[vgprValuA_X1_I0_D3+0], v[vgprValuA_X1_I0_D2+0], s[sgprPackKForV2] // select K=23 for vector=2
_v_lshl_or_b32 v[vgprValuA_X1_I0+4], v[vgprPackTemp], 0x10, v[vgprValuA_X1_I0+4] // pack two half Vgpr to one Vgpr
v_perm_b32 v[vgprValuA_X1_I0+5], v[vgprValuA_X1_I0_D5+0], v[vgprValuA_X1_I0_D4+0], s[sgprPackKForV2] // select K=45 for vector=2
v_perm_b32 v[vgprPackTemp], v[vgprValuA_X1_I0_D7+0], v[vgprValuA_X1_I0_D6+0], s[sgprPackKForV2] // select K=67 for vector=2
_v_lshl_or_b32 v[vgprValuA_X1_I0+5], v[vgprPackTemp], 0x10, v[vgprValuA_X1_I0+5] // pack two half Vgpr to one Vgpr
v_mfma_f32_16x16x32_bf8_fp8 a[4+0:7+0], v[vgprValuB_X1_I0+0+0+0:vgprValuB_X1_I0+0+0+0+1], v[vgprValuA_X1_I0+2+0+0:vgprValuA_X1_I0+2+0+0+1], a[4:7]
/*  mfmaIndex:66  */
_buffer_load_b32 v[vgprG2LB+6], v[vgprGlobalReadOffsetB+0], s[sgprSrdB:sgprSrdB+3], s[sgprScalarGlobalReadOffsetB+5], offen offset:0 // G -> Reg 0_0_6_0
/* pack scheduling: packAIdx:18, packBIdx:0 */
v_perm_b32 v[vgprValuA_X1_I0+6], v[vgprValuA_X1_I0_D1+0], v[vgprValuA_X1_I0_D0+0], s[sgprPackKForV3] // select K=01 for vector=3
v_perm_b32 v[vgprPackTemp], v[vgprValuA_X1_I0_D3+0], v[vgprValuA_X1_I0_D2+0], s[sgprPackKForV3] // select K=23 for vector=3
_v_lshl_or_b32 v[vgprValuA_X1_I0+6], v[vgprPackTemp], 0x10, v[vgprValuA_X1_I0+6] // pack two half Vgpr to one Vgpr
v_perm_b32 v[vgprValuA_X1_I0+7], v[vgprValuA_X1_I0_D5+0], v[vgprValuA_X1_I0_D4+0], s[sgprPackKForV3] // select K=45 for vector=3
v_perm_b32 v[vgprPackTemp], v[vgprValuA_X1_I0_D7+0], v[vgprValuA_X1_I0_D6+0], s[sgprPackKForV3] // select K=67 for vector=3
_v_lshl_or_b32 v[vgprValuA_X1_I0+7], v[vgprPackTemp], 0x10, v[vgprValuA_X1_I0+7] // pack two half Vgpr to one Vgpr
v_mfma_f32_16x16x32_bf8_fp8 a[8+0:11+0], v[vgprValuB_X1_I0+0+0+0:vgprValuB_X1_I0+0+0+0+1], v[vgprValuA_X1_I0+4+0+0:vgprValuA_X1_I0+4+0+0+1], a[8:11]
/*  mfmaIndex:67  */
v_mfma_f32_16x16x32_bf8_fp8 a[12+0:15+0], v[vgprValuB_X1_I0+0+0+0:vgprValuB_X1_I0+0+0+0+1], v[vgprValuA_X1_I0+6+0+0:vgprValuA_X1_I0+6+0+0+1], a[12:15]
/*  mfmaIndex:68  */
/* sched write - iter 1 writesPerItem=1 */
s_waitcnt vmcnt(0)                                 // lgkmcnt=-1 vmcnt=0wait for global read before writing to local
_ds_store_b32 v[vgprLocalWriteAddrB], v[vgprG2LB+7] offset:7616 // lwoB_0_0_7_0 = (0*LSCB)*(MT1J+PAD) + (7*LSPB) = 7616
v_mfma_f32_16x16x32_bf8_fp8 a[28+0:31+0], v[vgprValuB_X1_I0+2+0+0:vgprValuB_X1_I0+2+0+0+1], v[vgprValuA_X1_I0+6+0+0:vgprValuA_X1_I0+6+0+0+1], a[28:31]
/*  mfmaIndex:69  */
_buffer_load_b32 v[vgprG2LB+7], v[vgprGlobalReadOffsetB+0], s[sgprSrdB:sgprSrdB+3], s[sgprScalarGlobalReadOffsetB+6], offen offset:0 // G -> Reg 0_0_7_0
v_mfma_f32_16x16x32_bf8_fp8 a[24+0:27+0], v[vgprValuB_X1_I0+2+0+0:vgprValuB_X1_I0+2+0+0+1], v[vgprValuA_X1_I0+4+0+0:vgprValuA_X1_I0+4+0+0+1], a[24:27]
/*  mfmaIndex:70  */
v_mfma_f32_16x16x32_bf8_fp8 a[20+0:23+0], v[vgprValuB_X1_I0+2+0+0:vgprValuB_X1_I0+2+0+0+1], v[vgprValuA_X1_I0+2+0+0:vgprValuA_X1_I0+2+0+0+1], a[20:23]
/*  mfmaIndex:71  */
	;; [unrolled: 2-line block ×3, first 2 shown]
/* sched write - iter 1 writesPerItem=1 */
s_waitcnt vmcnt(0)                                 // lgkmcnt=-1 vmcnt=0wait for global read before writing to local
_ds_store_b32 v[vgprLocalWriteAddrB], v[vgprG2LB+8] offset:8704 // lwoB_0_0_8_0 = (0*LSCB)*(MT1J+PAD) + (8*LSPB) = 8704
v_mfma_f32_16x16x32_bf8_fp8 a[32+0:35+0], v[vgprValuB_X1_I0+4+0+0:vgprValuB_X1_I0+4+0+0+1], v[vgprValuA_X1_I0+0+0+0:vgprValuA_X1_I0+0+0+0+1], a[32:35]
/*  mfmaIndex:73  */
_buffer_load_b32 v[vgprG2LB+8], v[vgprGlobalReadOffsetB+0], s[sgprSrdB:sgprSrdB+3], s[sgprScalarGlobalReadOffsetB+7], offen offset:0 // G -> Reg 0_0_8_0
v_mfma_f32_16x16x32_bf8_fp8 a[36+0:39+0], v[vgprValuB_X1_I0+4+0+0:vgprValuB_X1_I0+4+0+0+1], v[vgprValuA_X1_I0+2+0+0:vgprValuA_X1_I0+2+0+0+1], a[36:39]
/*  mfmaIndex:74  */
v_mfma_f32_16x16x32_bf8_fp8 a[40+0:43+0], v[vgprValuB_X1_I0+4+0+0:vgprValuB_X1_I0+4+0+0+1], v[vgprValuA_X1_I0+4+0+0:vgprValuA_X1_I0+4+0+0+1], a[40:43]
/*  mfmaIndex:75  */
/* sched write - iter 1 writesPerItem=1 */
s_waitcnt vmcnt(0)                                 // lgkmcnt=-1 vmcnt=0wait for global read before writing to local
_ds_store_b32 v[vgprLocalWriteAddrB], v[vgprG2LB+9] offset:9792 // lwoB_0_0_9_0 = (0*LSCB)*(MT1J+PAD) + (9*LSPB) = 9792
v_mfma_f32_16x16x32_bf8_fp8 a[44+0:47+0], v[vgprValuB_X1_I0+4+0+0:vgprValuB_X1_I0+4+0+0+1], v[vgprValuA_X1_I0+6+0+0:vgprValuA_X1_I0+6+0+0+1], a[44:47]
/*  mfmaIndex:76  */
_buffer_load_b32 v[vgprG2LB+9], v[vgprGlobalReadOffsetB+0], s[sgprSrdB:sgprSrdB+3], s[sgprScalarGlobalReadOffsetB+8], offen offset:0 // G -> Reg 0_0_9_0
v_mfma_f32_16x16x32_bf8_fp8 a[60+0:63+0], v[vgprValuB_X1_I0+6+0+0:vgprValuB_X1_I0+6+0+0+1], v[vgprValuA_X1_I0+6+0+0:vgprValuA_X1_I0+6+0+0+1], a[60:63]
/*  mfmaIndex:77  */
v_mfma_f32_16x16x32_bf8_fp8 a[56+0:59+0], v[vgprValuB_X1_I0+6+0+0:vgprValuB_X1_I0+6+0+0+1], v[vgprValuA_X1_I0+4+0+0:vgprValuA_X1_I0+4+0+0+1], a[56:59]
/*  mfmaIndex:78  */
/* sched write - iter 1 writesPerItem=1 */
s_waitcnt vmcnt(0)                                 // lgkmcnt=-1 vmcnt=0wait for global read before writing to local
_ds_store_b32 v[vgprLocalWriteAddrB], v[vgprG2LB+10] offset:10880 // lwoB_0_0_10_0 = (0*LSCB)*(MT1J+PAD) + (10*LSPB) = 10880
v_mfma_f32_16x16x32_bf8_fp8 a[52+0:55+0], v[vgprValuB_X1_I0+6+0+0:vgprValuB_X1_I0+6+0+0+1], v[vgprValuA_X1_I0+2+0+0:vgprValuA_X1_I0+2+0+0+1], a[52:55]
/*  mfmaIndex:79  */
_buffer_load_b32 v[vgprG2LB+10], v[vgprGlobalReadOffsetB+0], s[sgprSrdB:sgprSrdB+3], s[sgprScalarGlobalReadOffsetB+9], offen offset:0 // G -> Reg 0_0_10_0
v_mfma_f32_16x16x32_bf8_fp8 a[48+0:51+0], v[vgprValuB_X1_I0+6+0+0:vgprValuB_X1_I0+6+0+0+1], v[vgprValuA_X1_I0+0+0+0:vgprValuA_X1_I0+0+0+0+1], a[48:51]
/*  mfmaIndex:80  */
v_mfma_f32_16x16x32_bf8_fp8 a[64+0:67+0], v[vgprValuB_X1_I0+8+0+0:vgprValuB_X1_I0+8+0+0+1], v[vgprValuA_X1_I0+0+0+0:vgprValuA_X1_I0+0+0+0+1], a[64:67]
/*  mfmaIndex:81  */
	;; [unrolled: 2-line block ×3, first 2 shown]
/* sched write - iter 1 writesPerItem=1 */
s_waitcnt vmcnt(0)                                 // lgkmcnt=-1 vmcnt=0wait for global read before writing to local
_ds_store_b32 v[vgprLocalWriteAddrB], v[vgprG2LB+11] offset:11968 // lwoB_0_0_11_0 = (0*LSCB)*(MT1J+PAD) + (11*LSPB) = 11968
v_mfma_f32_16x16x32_bf8_fp8 a[72+0:75+0], v[vgprValuB_X1_I0+8+0+0:vgprValuB_X1_I0+8+0+0+1], v[vgprValuA_X1_I0+4+0+0:vgprValuA_X1_I0+4+0+0+1], a[72:75]
/*  mfmaIndex:83  */
_buffer_load_b32 v[vgprG2LB+11], v[vgprGlobalReadOffsetB+0], s[sgprSrdB:sgprSrdB+3], s[sgprScalarGlobalReadOffsetB+10], offen offset:0 // G -> Reg 0_0_11_0
v_mfma_f32_16x16x32_bf8_fp8 a[76+0:79+0], v[vgprValuB_X1_I0+8+0+0:vgprValuB_X1_I0+8+0+0+1], v[vgprValuA_X1_I0+6+0+0:vgprValuA_X1_I0+6+0+0+1], a[76:79]
/*  mfmaIndex:84  */
v_mfma_f32_16x16x32_bf8_fp8 a[92+0:95+0], v[vgprValuB_X1_I0+10+0+0:vgprValuB_X1_I0+10+0+0+1], v[vgprValuA_X1_I0+6+0+0:vgprValuA_X1_I0+6+0+0+1], a[92:95]
/*  mfmaIndex:85  */
/* sched write - iter 1 writesPerItem=1 */
s_waitcnt vmcnt(0)                                 // lgkmcnt=-1 vmcnt=0wait for global read before writing to local
_ds_store_b32 v[vgprLocalWriteAddrB], v[vgprG2LB+12] offset:13056 // lwoB_0_0_12_0 = (0*LSCB)*(MT1J+PAD) + (12*LSPB) = 13056
v_mfma_f32_16x16x32_bf8_fp8 a[88+0:91+0], v[vgprValuB_X1_I0+10+0+0:vgprValuB_X1_I0+10+0+0+1], v[vgprValuA_X1_I0+4+0+0:vgprValuA_X1_I0+4+0+0+1], a[88:91]
/*  mfmaIndex:86  */
_buffer_load_b32 v[vgprG2LB+12], v[vgprGlobalReadOffsetB+0], s[sgprSrdB:sgprSrdB+3], s[sgprScalarGlobalReadOffsetB+11], offen offset:0 // G -> Reg 0_0_12_0
v_mfma_f32_16x16x32_bf8_fp8 a[84+0:87+0], v[vgprValuB_X1_I0+10+0+0:vgprValuB_X1_I0+10+0+0+1], v[vgprValuA_X1_I0+2+0+0:vgprValuA_X1_I0+2+0+0+1], a[84:87]
/*  mfmaIndex:87  */
v_mfma_f32_16x16x32_bf8_fp8 a[80+0:83+0], v[vgprValuB_X1_I0+10+0+0:vgprValuB_X1_I0+10+0+0+1], v[vgprValuA_X1_I0+0+0+0:vgprValuA_X1_I0+0+0+0+1], a[80:83]
/*  mfmaIndex:88  */
/* sched write - iter 1 writesPerItem=1 */
s_waitcnt vmcnt(0)                                 // lgkmcnt=-1 vmcnt=0wait for global read before writing to local
_ds_store_b32 v[vgprLocalWriteAddrB], v[vgprG2LB+13] offset:14144 // lwoB_0_0_13_0 = (0*LSCB)*(MT1J+PAD) + (13*LSPB) = 14144
v_mfma_f32_16x16x32_bf8_fp8 a[96+0:99+0], v[vgprValuB_X1_I0+12+0+0:vgprValuB_X1_I0+12+0+0+1], v[vgprValuA_X1_I0+0+0+0:vgprValuA_X1_I0+0+0+0+1], a[96:99]
/*  mfmaIndex:89  */
_buffer_load_b32 v[vgprG2LB+13], v[vgprGlobalReadOffsetB+0], s[sgprSrdB:sgprSrdB+3], s[sgprScalarGlobalReadOffsetB+12], offen offset:0 // G -> Reg 0_0_13_0
v_mfma_f32_16x16x32_bf8_fp8 a[100+0:103+0], v[vgprValuB_X1_I0+12+0+0:vgprValuB_X1_I0+12+0+0+1], v[vgprValuA_X1_I0+2+0+0:vgprValuA_X1_I0+2+0+0+1], a[100:103]
/*  mfmaIndex:90  */
v_mfma_f32_16x16x32_bf8_fp8 a[104+0:107+0], v[vgprValuB_X1_I0+12+0+0:vgprValuB_X1_I0+12+0+0+1], v[vgprValuA_X1_I0+4+0+0:vgprValuA_X1_I0+4+0+0+1], a[104:107]
/*  mfmaIndex:91  */
	;; [unrolled: 2-line block ×3, first 2 shown]
/* sched write - iter 1 writesPerItem=1 */
s_waitcnt vmcnt(0)                                 // lgkmcnt=-1 vmcnt=0wait for global read before writing to local
_ds_store_b32 v[vgprLocalWriteAddrB], v[vgprG2LB+14] offset:15232 // lwoB_0_0_14_0 = (0*LSCB)*(MT1J+PAD) + (14*LSPB) = 15232
v_mfma_f32_16x16x32_bf8_fp8 a[124+0:127+0], v[vgprValuB_X1_I0+14+0+0:vgprValuB_X1_I0+14+0+0+1], v[vgprValuA_X1_I0+6+0+0:vgprValuA_X1_I0+6+0+0+1], a[124:127]
/*  mfmaIndex:93  */
_buffer_load_b32 v[vgprG2LB+14], v[vgprGlobalReadOffsetB+0], s[sgprSrdB:sgprSrdB+3], s[sgprScalarGlobalReadOffsetB+13], offen offset:0 // G -> Reg 0_0_14_0
v_mfma_f32_16x16x32_bf8_fp8 a[120+0:123+0], v[vgprValuB_X1_I0+14+0+0:vgprValuB_X1_I0+14+0+0+1], v[vgprValuA_X1_I0+4+0+0:vgprValuA_X1_I0+4+0+0+1], a[120:123]
/*  mfmaIndex:94  */
v_mfma_f32_16x16x32_bf8_fp8 a[116+0:119+0], v[vgprValuB_X1_I0+14+0+0:vgprValuB_X1_I0+14+0+0+1], v[vgprValuA_X1_I0+2+0+0:vgprValuA_X1_I0+2+0+0+1], a[116:119]
/*  mfmaIndex:95  */
/* sched write - iter 1 writesPerItem=1 */
s_waitcnt vmcnt(0)                                 // lgkmcnt=-1 vmcnt=0wait for global read before writing to local
_ds_store_b32 v[vgprLocalWriteAddrB], v[vgprG2LB+15] offset:16320 // lwoB_0_0_15_0 = (0*LSCB)*(MT1J+PAD) + (15*LSPB) = 16320
v_mfma_f32_16x16x32_bf8_fp8 a[112+0:115+0], v[vgprValuB_X1_I0+14+0+0:vgprValuB_X1_I0+14+0+0+1], v[vgprValuA_X1_I0+0+0+0:vgprValuA_X1_I0+0+0+0+1], a[112:115]
/*  mfmaIndex:96  */
_buffer_load_b32 v[vgprG2LB+15], v[vgprGlobalReadOffsetB+0], s[sgprSrdB:sgprSrdB+3], s[sgprScalarGlobalReadOffsetB+14], offen offset:0 // G -> Reg 0_0_15_0

/* local write swap offsets a */

/* local write swap offsets b */
v_mfma_f32_16x16x32_bf8_fp8 a[128+0:131+0], v[vgprValuB_X1_I0+16+0+0:vgprValuB_X1_I0+16+0+0+1], v[vgprValuA_X1_I0+0+0+0:vgprValuA_X1_I0+0+0+0+1], a[128:131]
/*  mfmaIndex:97  */
v_mfma_f32_16x16x32_bf8_fp8 a[132+0:135+0], v[vgprValuB_X1_I0+16+0+0:vgprValuB_X1_I0+16+0+0+1], v[vgprValuA_X1_I0+2+0+0:vgprValuA_X1_I0+2+0+0+1], a[132:135]
s_setprio 0                                        // store optimization
/*  mfmaIndex:98  */
s_waitcnt lgkmcnt(0)                               // lgkmcnt=0 vmcnt=-13wait for local write
// Skip force waitcnt0
s_barrier //
v_mfma_f32_16x16x32_bf8_fp8 a[136+0:139+0], v[vgprValuB_X1_I0+16+0+0:vgprValuB_X1_I0+16+0+0+1], v[vgprValuA_X1_I0+4+0+0:vgprValuA_X1_I0+4+0+0+1], a[136:139]
/*  mfmaIndex:99  */
s_setprio 3                                        // store optimization
_ds_load_b32 v[vgprValuA_X0_I0_D0+0], v[vgprLocalReadAddrA] offset:0 // L -> Reg lro=0 swapByteOffset=0 ti=256 vIdx=0 rIdx=0 oIdx=0 buffer=0 iui=0
v_mfma_f32_16x16x32_bf8_fp8 a[140+0:143+0], v[vgprValuB_X1_I0+16+0+0:vgprValuB_X1_I0+16+0+0+1], v[vgprValuA_X1_I0+6+0+0:vgprValuA_X1_I0+6+0+0+1], a[140:143]
/*  mfmaIndex:100  */
_ds_load_b32 v[vgprValuA_X0_I0_D1+0], v[vgprLocalReadAddrA] offset:256 // L -> Reg lro=0 swapByteOffset=0 ti=256 vIdx=0 rIdx=1 oIdx=0 buffer=0 iui=0
v_mfma_f32_16x16x32_bf8_fp8 a[156+0:159+0], v[vgprValuB_X1_I0+18+0+0:vgprValuB_X1_I0+18+0+0+1], v[vgprValuA_X1_I0+6+0+0:vgprValuA_X1_I0+6+0+0+1], a[156:159]
/*  mfmaIndex:101  */
_ds_load_b32 v[vgprValuA_X0_I0_D2+0], v[vgprLocalReadAddrA] offset:512 // L -> Reg lro=0 swapByteOffset=0 ti=256 vIdx=0 rIdx=2 oIdx=0 buffer=0 iui=0
v_mfma_f32_16x16x32_bf8_fp8 a[152+0:155+0], v[vgprValuB_X1_I0+18+0+0:vgprValuB_X1_I0+18+0+0+1], v[vgprValuA_X1_I0+4+0+0:vgprValuA_X1_I0+4+0+0+1], a[152:155]
/*  mfmaIndex:102  */
_ds_load_b32 v[vgprValuA_X0_I0_D3+0], v[vgprLocalReadAddrA] offset:768 // L -> Reg lro=0 swapByteOffset=0 ti=256 vIdx=0 rIdx=3 oIdx=0 buffer=0 iui=0
v_mfma_f32_16x16x32_bf8_fp8 a[148+0:151+0], v[vgprValuB_X1_I0+18+0+0:vgprValuB_X1_I0+18+0+0+1], v[vgprValuA_X1_I0+2+0+0:vgprValuA_X1_I0+2+0+0+1], a[148:151]
/*  mfmaIndex:103  */
_ds_load_b32 v[vgprValuA_X0_I0_D4+0], v[vgprLocalReadAddrA] offset:1024 // L -> Reg lro=0 swapByteOffset=0 ti=256 vIdx=0 rIdx=4 oIdx=0 buffer=0 iui=0
v_mfma_f32_16x16x32_bf8_fp8 a[144+0:147+0], v[vgprValuB_X1_I0+18+0+0:vgprValuB_X1_I0+18+0+0+1], v[vgprValuA_X1_I0+0+0+0:vgprValuA_X1_I0+0+0+0+1], a[144:147]
/*  mfmaIndex:104  */
_ds_load_b32 v[vgprValuA_X0_I0_D5+0], v[vgprLocalReadAddrA] offset:1280 // L -> Reg lro=0 swapByteOffset=0 ti=256 vIdx=0 rIdx=5 oIdx=0 buffer=0 iui=0
v_mfma_f32_16x16x32_bf8_fp8 a[160+0:163+0], v[vgprValuB_X1_I0+20+0+0:vgprValuB_X1_I0+20+0+0+1], v[vgprValuA_X1_I0+0+0+0:vgprValuA_X1_I0+0+0+0+1], a[160:163]
/*  mfmaIndex:105  */
_ds_load_b32 v[vgprValuA_X0_I0_D6+0], v[vgprLocalReadAddrA] offset:1536 // L -> Reg lro=0 swapByteOffset=0 ti=256 vIdx=0 rIdx=6 oIdx=0 buffer=0 iui=0
v_mfma_f32_16x16x32_bf8_fp8 a[164+0:167+0], v[vgprValuB_X1_I0+20+0+0:vgprValuB_X1_I0+20+0+0+1], v[vgprValuA_X1_I0+2+0+0:vgprValuA_X1_I0+2+0+0+1], a[164:167]
/*  mfmaIndex:106  */
_ds_load_b32 v[vgprValuA_X0_I0_D7+0], v[vgprLocalReadAddrA] offset:1792 // L -> Reg lro=0 swapByteOffset=0 ti=256 vIdx=0 rIdx=7 oIdx=0 buffer=0 iui=0
v_mfma_f32_16x16x32_bf8_fp8 a[168+0:171+0], v[vgprValuB_X1_I0+20+0+0:vgprValuB_X1_I0+20+0+0+1], v[vgprValuA_X1_I0+4+0+0:vgprValuA_X1_I0+4+0+0+1], a[168:171]
/*  mfmaIndex:107  */
_ds_load_b64 v[vgprValuB_X0_I0+0:vgprValuB_X0_I0+0+1], v[vgprLocalReadAddrB] offset:0 // L -> Reg lro=0 swapByteOffset=0 ti=16 vIdx=0 rIdx=0 oIdx=0 buffer=0 iui=0
v_mfma_f32_16x16x32_bf8_fp8 a[172+0:175+0], v[vgprValuB_X1_I0+20+0+0:vgprValuB_X1_I0+20+0+0+1], v[vgprValuA_X1_I0+6+0+0:vgprValuA_X1_I0+6+0+0+1], a[172:175]
/*  mfmaIndex:108  */
_ds_load_b64 v[vgprValuB_X0_I0+2:vgprValuB_X0_I0+2+1], v[vgprLocalReadAddrB] offset:1088 // L -> Reg lro=0 swapByteOffset=0 ti=16 vIdx=1 rIdx=0 oIdx=0 buffer=0 iui=0
	;; [unrolled: 3-line block ×16, first 2 shown]
v_mfma_f32_16x16x32_bf8_fp8 a[232+0:235+0], v[vgprValuB_X1_I0+28+0+0:vgprValuB_X1_I0+28+0+0+1], v[vgprValuA_X1_I0+4+0+0:vgprValuA_X1_I0+4+0+0+1], a[232:235]
/*  mfmaIndex:123  */
v_mfma_f32_16x16x32_bf8_fp8 a[236+0:239+0], v[vgprValuB_X1_I0+28+0+0:vgprValuB_X1_I0+28+0+0+1], v[vgprValuA_X1_I0+6+0+0:vgprValuA_X1_I0+6+0+0+1], a[236:239]
/*  mfmaIndex:124  */
	;; [unrolled: 2-line block ×5, first 2 shown]
v_mfma_f32_16x16x32_bf8_fp8 a[240+0:243+0], v[vgprValuB_X1_I0+30+0+0:vgprValuB_X1_I0+30+0+0+1], v[vgprValuA_X1_I0+0+0+0:vgprValuA_X1_I0+0+0+0+1], a[240:243]
s_setprio 0                                        // store optimization


/******************************************/
/* Unrolled Loop - End 1/2                */
/******************************************/


/* closeLoop loopL finalLoop=0 tailLoop=0 */
s_sub_u32 s[sgprLoopCounterL], s[sgprLoopCounterL], 1 // dec counterL


/******************************************/
/* Unrolled Loop 2/2 - Begin              */
/******************************************/

label_0015: // LoopCopy2 


/* Begin Each Unroll: Check VGPR.checkin for INT8 LW */


	;; [unrolled: 1-line block ×3, first 2 shown]
/* iter 0 (reset local read pointers iteration)  (swap local read pointers iteration)  */

/*  grEndMfmaIndex:18, lwStartMfmaIndex:32, lwEndMfmaIndex:96  */
/*  numMfmaForLR:29, barrierMfmaIndex:98, LocalWritePerMfma:0.300 */
/*  mfmaIndex:0  */
s_waitcnt lgkmcnt(0)                               // lgkmcnt=0 vmcnt=-1wait for prior local read local write old=0, new=0 newLW=0 newLR=0
/* pack scheduling: packAIdx:6, packBIdx:0 */
v_perm_b32 v[vgprValuA_X0_I0+0], v[vgprValuA_X0_I0_D1+0], v[vgprValuA_X0_I0_D0+0], s[sgprPackKForV0] // select K=01 for vector=0
v_perm_b32 v[vgprPackTemp], v[vgprValuA_X0_I0_D3+0], v[vgprValuA_X0_I0_D2+0], s[sgprPackKForV0] // select K=23 for vector=0
_v_lshl_or_b32 v[vgprValuA_X0_I0+0], v[vgprPackTemp], 0x10, v[vgprValuA_X0_I0+0] // pack two half Vgpr to one Vgpr
v_perm_b32 v[vgprValuA_X0_I0+1], v[vgprValuA_X0_I0_D5+0], v[vgprValuA_X0_I0_D4+0], s[sgprPackKForV0] // select K=45 for vector=0
v_perm_b32 v[vgprPackTemp], v[vgprValuA_X0_I0_D7+0], v[vgprValuA_X0_I0_D6+0], s[sgprPackKForV0] // select K=67 for vector=0
_v_lshl_or_b32 v[vgprValuA_X0_I0+1], v[vgprPackTemp], 0x10, v[vgprValuA_X0_I0+1] // pack two half Vgpr to one Vgpr
v_perm_b32 v[vgprValuA_X0_I0+2], v[vgprValuA_X0_I0_D1+0], v[vgprValuA_X0_I0_D0+0], s[sgprPackKForV1] // select K=01 for vector=1
v_perm_b32 v[vgprPackTemp], v[vgprValuA_X0_I0_D3+0], v[vgprValuA_X0_I0_D2+0], s[sgprPackKForV1] // select K=23 for vector=1
_v_lshl_or_b32 v[vgprValuA_X0_I0+2], v[vgprPackTemp], 0x10, v[vgprValuA_X0_I0+2] // pack two half Vgpr to one Vgpr
v_perm_b32 v[vgprValuA_X0_I0+3], v[vgprValuA_X0_I0_D5+0], v[vgprValuA_X0_I0_D4+0], s[sgprPackKForV1] // select K=45 for vector=1
v_perm_b32 v[vgprPackTemp], v[vgprValuA_X0_I0_D7+0], v[vgprValuA_X0_I0_D6+0], s[sgprPackKForV1] // select K=67 for vector=1
_v_lshl_or_b32 v[vgprValuA_X0_I0+3], v[vgprPackTemp], 0x10, v[vgprValuA_X0_I0+3] // pack two half Vgpr to one Vgpr
v_mfma_f32_16x16x32_bf8_fp8 a[0+0:3+0], v[vgprValuB_X0_I0+0+0+0:vgprValuB_X0_I0+0+0+0+1], v[vgprValuA_X0_I0+0+0+0:vgprValuA_X0_I0+0+0+0+1], a[0:3]
/*  mfmaIndex:1  */
_ds_load_b32 v[vgprValuA_X1_I0_D0+0], v[vgprLocalReadAddrA] offset:8448 // L -> Reg lro=8192 swapByteOffset=0 ti=256 vIdx=0 rIdx=0 oIdx=0 buffer=1 iui=0

/* global read inc A loopL */
s_cmp_eq_u32 s[sgprLoopCounterL], s[sgprStaggerUIter] // Is this the wrapIter?
/* pack scheduling: packAIdx:12, packBIdx:0 */
v_perm_b32 v[vgprValuA_X0_I0+4], v[vgprValuA_X0_I0_D1+0], v[vgprValuA_X0_I0_D0+0], s[sgprPackKForV2] // select K=01 for vector=2
v_perm_b32 v[vgprPackTemp], v[vgprValuA_X0_I0_D3+0], v[vgprValuA_X0_I0_D2+0], s[sgprPackKForV2] // select K=23 for vector=2
_v_lshl_or_b32 v[vgprValuA_X0_I0+4], v[vgprPackTemp], 0x10, v[vgprValuA_X0_I0+4] // pack two half Vgpr to one Vgpr
v_perm_b32 v[vgprValuA_X0_I0+5], v[vgprValuA_X0_I0_D5+0], v[vgprValuA_X0_I0_D4+0], s[sgprPackKForV2] // select K=45 for vector=2
v_perm_b32 v[vgprPackTemp], v[vgprValuA_X0_I0_D7+0], v[vgprValuA_X0_I0_D6+0], s[sgprPackKForV2] // select K=67 for vector=2
_v_lshl_or_b32 v[vgprValuA_X0_I0+5], v[vgprPackTemp], 0x10, v[vgprValuA_X0_I0+5] // pack two half Vgpr to one Vgpr
v_mfma_f32_16x16x32_bf8_fp8 a[4+0:7+0], v[vgprValuB_X0_I0+0+0+0:vgprValuB_X0_I0+0+0+0+1], v[vgprValuA_X0_I0+2+0+0:vgprValuA_X0_I0+2+0+0+1], a[4:7]
/*  mfmaIndex:2  */
_ds_load_b32 v[vgprValuA_X1_I0_D1+0], v[vgprLocalReadAddrA] offset:8704 // L -> Reg lro=8192 swapByteOffset=0 ti=256 vIdx=0 rIdx=1 oIdx=0 buffer=1 iui=0
s_cselect_b32 s80, s[sgprWrapUA+0], s[sgprGlobalReadIncsA+0] // incLower <- ?
/* pack scheduling: packAIdx:18, packBIdx:0 */
v_perm_b32 v[vgprValuA_X0_I0+6], v[vgprValuA_X0_I0_D1+0], v[vgprValuA_X0_I0_D0+0], s[sgprPackKForV3] // select K=01 for vector=3
v_perm_b32 v[vgprPackTemp], v[vgprValuA_X0_I0_D3+0], v[vgprValuA_X0_I0_D2+0], s[sgprPackKForV3] // select K=23 for vector=3
_v_lshl_or_b32 v[vgprValuA_X0_I0+6], v[vgprPackTemp], 0x10, v[vgprValuA_X0_I0+6] // pack two half Vgpr to one Vgpr
v_perm_b32 v[vgprValuA_X0_I0+7], v[vgprValuA_X0_I0_D5+0], v[vgprValuA_X0_I0_D4+0], s[sgprPackKForV3] // select K=45 for vector=3
v_perm_b32 v[vgprPackTemp], v[vgprValuA_X0_I0_D7+0], v[vgprValuA_X0_I0_D6+0], s[sgprPackKForV3] // select K=67 for vector=3
_v_lshl_or_b32 v[vgprValuA_X0_I0+7], v[vgprPackTemp], 0x10, v[vgprValuA_X0_I0+7] // pack two half Vgpr to one Vgpr
v_mfma_f32_16x16x32_bf8_fp8 a[8+0:11+0], v[vgprValuB_X0_I0+0+0+0:vgprValuB_X0_I0+0+0+0+1], v[vgprValuA_X0_I0+4+0+0:vgprValuA_X0_I0+4+0+0+1], a[8:11]
/*  mfmaIndex:3  */
_ds_load_b32 v[vgprValuA_X1_I0_D2+0], v[vgprLocalReadAddrA] offset:8960 // L -> Reg lro=8192 swapByteOffset=0 ti=256 vIdx=0 rIdx=2 oIdx=0 buffer=1 iui=0
s_cselect_b32 s81, s[sgprWrapUA+1], 0              // incUpper <- ?
v_mfma_f32_16x16x32_bf8_fp8 a[12+0:15+0], v[vgprValuB_X0_I0+0+0+0:vgprValuB_X0_I0+0+0+0+1], v[vgprValuA_X0_I0+6+0+0:vgprValuA_X0_I0+6+0+0+1], a[12:15]
/*  mfmaIndex:4  */
_ds_load_b32 v[vgprValuA_X1_I0_D3+0], v[vgprLocalReadAddrA] offset:9216 // L -> Reg lro=8192 swapByteOffset=0 ti=256 vIdx=0 rIdx=3 oIdx=0 buffer=1 iui=0
s_add_u32 s[sgprSrdA+0], s[sgprSrdA+0], s80        // gra SRD += inc(lower)
v_mfma_f32_16x16x32_bf8_fp8 a[28+0:31+0], v[vgprValuB_X0_I0+2+0+0:vgprValuB_X0_I0+2+0+0+1], v[vgprValuA_X0_I0+6+0+0:vgprValuA_X0_I0+6+0+0+1], a[28:31]
/*  mfmaIndex:5  */
_ds_load_b32 v[vgprValuA_X1_I0_D4+0], v[vgprLocalReadAddrA] offset:9472 // L -> Reg lro=8192 swapByteOffset=0 ti=256 vIdx=0 rIdx=4 oIdx=0 buffer=1 iui=0
s_addc_u32  s[sgprSrdA+1], s[sgprSrdA+1], s81      // gra SRD += inc(upper)
v_mfma_f32_16x16x32_bf8_fp8 a[24+0:27+0], v[vgprValuB_X0_I0+2+0+0:vgprValuB_X0_I0+2+0+0+1], v[vgprValuA_X0_I0+4+0+0:vgprValuA_X0_I0+4+0+0+1], a[24:27]
/*  mfmaIndex:6  */
_ds_load_b32 v[vgprValuA_X1_I0_D5+0], v[vgprLocalReadAddrA] offset:9728 // L -> Reg lro=8192 swapByteOffset=0 ti=256 vIdx=0 rIdx=5 oIdx=0 buffer=1 iui=0
s_sub_u32 s[sgprShadowLimitA+0], s[sgprShadowLimitA+0], s80 // limit -= inc)
v_mfma_f32_16x16x32_bf8_fp8 a[20+0:23+0], v[vgprValuB_X0_I0+2+0+0:vgprValuB_X0_I0+2+0+0+1], v[vgprValuA_X0_I0+2+0+0:vgprValuA_X0_I0+2+0+0+1], a[20:23]
/*  mfmaIndex:7  */
_ds_load_b32 v[vgprValuA_X1_I0_D6+0], v[vgprLocalReadAddrA] offset:9984 // L -> Reg lro=8192 swapByteOffset=0 ti=256 vIdx=0 rIdx=6 oIdx=0 buffer=1 iui=0
s_subb_u32 s[sgprShadowLimitA+1], s[sgprShadowLimitA+1], s81 // limit -= inc)
v_mfma_f32_16x16x32_bf8_fp8 a[16+0:19+0], v[vgprValuB_X0_I0+2+0+0:vgprValuB_X0_I0+2+0+0+1], v[vgprValuA_X0_I0+0+0+0:vgprValuA_X0_I0+0+0+0+1], a[16:19]
/*  mfmaIndex:8  */
_ds_load_b32 v[vgprValuA_X1_I0_D7+0], v[vgprLocalReadAddrA] offset:10240 // L -> Reg lro=8192 swapByteOffset=0 ti=256 vIdx=0 rIdx=7 oIdx=0 buffer=1 iui=0
s_cmp_eq_u32 s[sgprShadowLimitA+1], 0              // are we within 2^32?
v_mfma_f32_16x16x32_bf8_fp8 a[32+0:35+0], v[vgprValuB_X0_I0+4+0+0:vgprValuB_X0_I0+4+0+0+1], v[vgprValuA_X0_I0+0+0+0:vgprValuA_X0_I0+0+0+0+1], a[32:35]
/*  mfmaIndex:9  */
_ds_load_b64 v[vgprValuB_X1_I0+0:vgprValuB_X1_I0+0+1], v[vgprLocalReadAddrB] offset:32 // L -> Reg lro=32 swapByteOffset=0 ti=16 vIdx=0 rIdx=0 oIdx=0 buffer=1 iui=0
s_cselect_b32 s[sgprSrdA+2], s[sgprShadowLimitA+0], BufferLimitA // Move shadow to real if we are within 2^32
v_mfma_f32_16x16x32_bf8_fp8 a[36+0:39+0], v[vgprValuB_X0_I0+4+0+0:vgprValuB_X0_I0+4+0+0+1], v[vgprValuA_X0_I0+2+0+0:vgprValuA_X0_I0+2+0+0+1], a[36:39]
/*  mfmaIndex:10  */
_ds_load_b64 v[vgprValuB_X1_I0+2:vgprValuB_X1_I0+2+1], v[vgprLocalReadAddrB] offset:1120 // L -> Reg lro=32 swapByteOffset=0 ti=16 vIdx=1 rIdx=0 oIdx=0 buffer=1 iui=0

/* global read inc B loopL */
s_cmp_eq_u32 s[sgprLoopCounterL], s[sgprStaggerUIter] // Is this the wrapIter?
v_mfma_f32_16x16x32_bf8_fp8 a[40+0:43+0], v[vgprValuB_X0_I0+4+0+0:vgprValuB_X0_I0+4+0+0+1], v[vgprValuA_X0_I0+4+0+0:vgprValuA_X0_I0+4+0+0+1], a[40:43]
/*  mfmaIndex:11  */
_ds_load_b64 v[vgprValuB_X1_I0+4:vgprValuB_X1_I0+4+1], v[vgprLocalReadAddrB] offset:2208 // L -> Reg lro=32 swapByteOffset=0 ti=16 vIdx=2 rIdx=0 oIdx=0 buffer=1 iui=0
s_cselect_b32 s80, s[sgprWrapUB+0], s[sgprGlobalReadIncsB+0] // incLower <- ?
v_mfma_f32_16x16x32_bf8_fp8 a[44+0:47+0], v[vgprValuB_X0_I0+4+0+0:vgprValuB_X0_I0+4+0+0+1], v[vgprValuA_X0_I0+6+0+0:vgprValuA_X0_I0+6+0+0+1], a[44:47]
/*  mfmaIndex:12  */
_ds_load_b64 v[vgprValuB_X1_I0+6:vgprValuB_X1_I0+6+1], v[vgprLocalReadAddrB] offset:3296 // L -> Reg lro=32 swapByteOffset=0 ti=16 vIdx=3 rIdx=0 oIdx=0 buffer=1 iui=0
s_cselect_b32 s81, s[sgprWrapUB+1], 0              // incUpper <- ?
v_mfma_f32_16x16x32_bf8_fp8 a[60+0:63+0], v[vgprValuB_X0_I0+6+0+0:vgprValuB_X0_I0+6+0+0+1], v[vgprValuA_X0_I0+6+0+0:vgprValuA_X0_I0+6+0+0+1], a[60:63]
/*  mfmaIndex:13  */
_ds_load_b64 v[vgprValuB_X1_I0+8:vgprValuB_X1_I0+8+1], v[vgprLocalReadAddrB] offset:4384 // L -> Reg lro=32 swapByteOffset=0 ti=16 vIdx=4 rIdx=0 oIdx=0 buffer=1 iui=0
s_add_u32 s[sgprSrdB+0], s[sgprSrdB+0], s80        // gra SRD += inc(lower)
v_mfma_f32_16x16x32_bf8_fp8 a[56+0:59+0], v[vgprValuB_X0_I0+6+0+0:vgprValuB_X0_I0+6+0+0+1], v[vgprValuA_X0_I0+4+0+0:vgprValuA_X0_I0+4+0+0+1], a[56:59]
/*  mfmaIndex:14  */
_ds_load_b64 v[vgprValuB_X1_I0+10:vgprValuB_X1_I0+10+1], v[vgprLocalReadAddrB] offset:5472 // L -> Reg lro=32 swapByteOffset=0 ti=16 vIdx=5 rIdx=0 oIdx=0 buffer=1 iui=0
s_addc_u32  s[sgprSrdB+1], s[sgprSrdB+1], s81      // gra SRD += inc(upper)
v_mfma_f32_16x16x32_bf8_fp8 a[52+0:55+0], v[vgprValuB_X0_I0+6+0+0:vgprValuB_X0_I0+6+0+0+1], v[vgprValuA_X0_I0+2+0+0:vgprValuA_X0_I0+2+0+0+1], a[52:55]
/*  mfmaIndex:15  */
_ds_load_b64 v[vgprValuB_X1_I0+12:vgprValuB_X1_I0+12+1], v[vgprLocalReadAddrB] offset:6560 // L -> Reg lro=32 swapByteOffset=0 ti=16 vIdx=6 rIdx=0 oIdx=0 buffer=1 iui=0
s_sub_u32 s[sgprShadowLimitB+0], s[sgprShadowLimitB+0], s80 // limit -= inc)
v_mfma_f32_16x16x32_bf8_fp8 a[48+0:51+0], v[vgprValuB_X0_I0+6+0+0:vgprValuB_X0_I0+6+0+0+1], v[vgprValuA_X0_I0+0+0+0:vgprValuA_X0_I0+0+0+0+1], a[48:51]
/*  mfmaIndex:16  */
_ds_load_b64 v[vgprValuB_X1_I0+14:vgprValuB_X1_I0+14+1], v[vgprLocalReadAddrB] offset:7648 // L -> Reg lro=32 swapByteOffset=0 ti=16 vIdx=7 rIdx=0 oIdx=0 buffer=1 iui=0
s_subb_u32 s[sgprShadowLimitB+1], s[sgprShadowLimitB+1], s81 // limit -= inc)
v_mfma_f32_16x16x32_bf8_fp8 a[64+0:67+0], v[vgprValuB_X0_I0+8+0+0:vgprValuB_X0_I0+8+0+0+1], v[vgprValuA_X0_I0+0+0+0:vgprValuA_X0_I0+0+0+0+1], a[64:67]
/*  mfmaIndex:17  */
_ds_load_b64 v[vgprValuB_X1_I0+16:vgprValuB_X1_I0+16+1], v[vgprLocalReadAddrB] offset:8736 // L -> Reg lro=32 swapByteOffset=0 ti=16 vIdx=8 rIdx=0 oIdx=0 buffer=1 iui=0
s_cmp_eq_u32 s[sgprShadowLimitB+1], 0              // are we within 2^32?
v_mfma_f32_16x16x32_bf8_fp8 a[68+0:71+0], v[vgprValuB_X0_I0+8+0+0:vgprValuB_X0_I0+8+0+0+1], v[vgprValuA_X0_I0+2+0+0:vgprValuA_X0_I0+2+0+0+1], a[68:71]
/*  mfmaIndex:18  */
_ds_load_b64 v[vgprValuB_X1_I0+18:vgprValuB_X1_I0+18+1], v[vgprLocalReadAddrB] offset:9824 // L -> Reg lro=32 swapByteOffset=0 ti=16 vIdx=9 rIdx=0 oIdx=0 buffer=1 iui=0
s_cselect_b32 s[sgprSrdB+2], s[sgprShadowLimitB+0], BufferLimitB // Move shadow to real if we are within 2^32
v_mfma_f32_16x16x32_bf8_fp8 a[72+0:75+0], v[vgprValuB_X0_I0+8+0+0:vgprValuB_X0_I0+8+0+0+1], v[vgprValuA_X0_I0+4+0+0:vgprValuA_X0_I0+4+0+0+1], a[72:75]
/*  mfmaIndex:19  */
_ds_load_b64 v[vgprValuB_X1_I0+20:vgprValuB_X1_I0+20+1], v[vgprLocalReadAddrB] offset:10912 // L -> Reg lro=32 swapByteOffset=0 ti=16 vIdx=10 rIdx=0 oIdx=0 buffer=1 iui=0
v_mfma_f32_16x16x32_bf8_fp8 a[76+0:79+0], v[vgprValuB_X0_I0+8+0+0:vgprValuB_X0_I0+8+0+0+1], v[vgprValuA_X0_I0+6+0+0:vgprValuA_X0_I0+6+0+0+1], a[76:79]
/*  mfmaIndex:20  */
_ds_load_b64 v[vgprValuB_X1_I0+22:vgprValuB_X1_I0+22+1], v[vgprLocalReadAddrB] offset:12000 // L -> Reg lro=32 swapByteOffset=0 ti=16 vIdx=11 rIdx=0 oIdx=0 buffer=1 iui=0
	;; [unrolled: 3-line block ×6, first 2 shown]
v_mfma_f32_16x16x32_bf8_fp8 a[96+0:99+0], v[vgprValuB_X0_I0+12+0+0:vgprValuB_X0_I0+12+0+0+1], v[vgprValuA_X0_I0+0+0+0:vgprValuA_X0_I0+0+0+0+1], a[96:99]
/*  mfmaIndex:25  */
/* localReadsVacancy: latencyLeft 2 */
v_mfma_f32_16x16x32_bf8_fp8 a[100+0:103+0], v[vgprValuB_X0_I0+12+0+0:vgprValuB_X0_I0+12+0+0+1], v[vgprValuA_X0_I0+2+0+0:vgprValuA_X0_I0+2+0+0+1], a[100:103]
/*  mfmaIndex:26  */
/* localReadsVacancy: latencyLeft 2 */
	;; [unrolled: 3-line block ×7, first 2 shown]
/* 1 LDS buffer: read-sync-write */
s_waitcnt lgkmcnt(0)                               // 
s_barrier                                          // 
v_mfma_f32_16x16x32_bf8_fp8 a[112+0:115+0], v[vgprValuB_X0_I0+14+0+0:vgprValuB_X0_I0+14+0+0+1], v[vgprValuA_X0_I0+0+0+0:vgprValuA_X0_I0+0+0+0+1], a[112:115]
/*  mfmaIndex:32  */
s_setprio 3                                        // store optimization
/* sched write - iter 0 writesPerItem=1 */
s_waitcnt vmcnt(0)                                 // lgkmcnt=-1 vmcnt=0wait for global read before writing to local
_ds_store_b128 v[vgprLocalWriteAddrA], v[vgprG2LA+0:vgprG2LA+0+3] offset:0 // lwoA_0_0_0_0 = (0*LSCA) + (0*LSPA)(*MT0I+PAD) = 0
v_mfma_f32_16x16x32_bf8_fp8 a[128+0:131+0], v[vgprValuB_X0_I0+16+0+0:vgprValuB_X0_I0+16+0+0+1], v[vgprValuA_X0_I0+0+0+0:vgprValuA_X0_I0+0+0+0+1], a[128:131]
/*  mfmaIndex:33  */
_buffer_load_b128 v[vgprG2LA+0:vgprG2LA+0+3], v[vgprGlobalReadOffsetA+0], s[sgprSrdA:sgprSrdA+3], 0, offen offset:0 // G -> Reg 0_0_0_0
v_mfma_f32_16x16x32_bf8_fp8 a[132+0:135+0], v[vgprValuB_X0_I0+16+0+0:vgprValuB_X0_I0+16+0+0+1], v[vgprValuA_X0_I0+2+0+0:vgprValuA_X0_I0+2+0+0+1], a[132:135]
/*  mfmaIndex:34  */
v_mfma_f32_16x16x32_bf8_fp8 a[136+0:139+0], v[vgprValuB_X0_I0+16+0+0:vgprValuB_X0_I0+16+0+0+1], v[vgprValuA_X0_I0+4+0+0:vgprValuA_X0_I0+4+0+0+1], a[136:139]
/*  mfmaIndex:35  */
/* sched write - iter 0 writesPerItem=1 */
s_waitcnt vmcnt(0)                                 // lgkmcnt=-1 vmcnt=0wait for global read before writing to local
_ds_store_b128 v[vgprLocalWriteAddrA], v[vgprG2LA+4:vgprG2LA+4+3] offset:1024 // lwoA_0_0_1_0 = (0*LSCA) + (1*LSPA)(*MT0I+PAD) = 1024
v_mfma_f32_16x16x32_bf8_fp8 a[140+0:143+0], v[vgprValuB_X0_I0+16+0+0:vgprValuB_X0_I0+16+0+0+1], v[vgprValuA_X0_I0+6+0+0:vgprValuA_X0_I0+6+0+0+1], a[140:143]
/*  mfmaIndex:36  */
_buffer_load_b128 v[vgprG2LA+4:vgprG2LA+4+3], v[vgprGlobalReadOffsetA+0], s[sgprSrdA:sgprSrdA+3], s[sgprScalarGlobalReadOffsetA+0], offen offset:0 // G -> Reg 0_0_1_0
v_mfma_f32_16x16x32_bf8_fp8 a[156+0:159+0], v[vgprValuB_X0_I0+18+0+0:vgprValuB_X0_I0+18+0+0+1], v[vgprValuA_X0_I0+6+0+0:vgprValuA_X0_I0+6+0+0+1], a[156:159]
/*  mfmaIndex:37  */
v_mfma_f32_16x16x32_bf8_fp8 a[152+0:155+0], v[vgprValuB_X0_I0+18+0+0:vgprValuB_X0_I0+18+0+0+1], v[vgprValuA_X0_I0+4+0+0:vgprValuA_X0_I0+4+0+0+1], a[152:155]
/*  mfmaIndex:38  */
/* sched write - iter 0 writesPerItem=1 */
s_waitcnt vmcnt(0)                                 // lgkmcnt=-1 vmcnt=0wait for global read before writing to local
_ds_store_b128 v[vgprLocalWriteAddrA], v[vgprG2LA+8:vgprG2LA+8+3] offset:2112 // lwoA_0_0_2_0 = (0*LSCA) + (2*LSPA)(*MT0I+PAD) = 2112
v_mfma_f32_16x16x32_bf8_fp8 a[148+0:151+0], v[vgprValuB_X0_I0+18+0+0:vgprValuB_X0_I0+18+0+0+1], v[vgprValuA_X0_I0+2+0+0:vgprValuA_X0_I0+2+0+0+1], a[148:151]
/*  mfmaIndex:39  */
_buffer_load_b128 v[vgprG2LA+8:vgprG2LA+8+3], v[vgprGlobalReadOffsetA+0], s[sgprSrdA:sgprSrdA+3], s[sgprScalarGlobalReadOffsetA+1], offen offset:0 // G -> Reg 0_0_2_0
v_mfma_f32_16x16x32_bf8_fp8 a[144+0:147+0], v[vgprValuB_X0_I0+18+0+0:vgprValuB_X0_I0+18+0+0+1], v[vgprValuA_X0_I0+0+0+0:vgprValuA_X0_I0+0+0+0+1], a[144:147]
/*  mfmaIndex:40  */
v_mfma_f32_16x16x32_bf8_fp8 a[160+0:163+0], v[vgprValuB_X0_I0+20+0+0:vgprValuB_X0_I0+20+0+0+1], v[vgprValuA_X0_I0+0+0+0:vgprValuA_X0_I0+0+0+0+1], a[160:163]
/*  mfmaIndex:41  */
	;; [unrolled: 2-line block ×3, first 2 shown]
/* sched write - iter 0 writesPerItem=1 */
s_waitcnt vmcnt(0)                                 // lgkmcnt=-1 vmcnt=0wait for global read before writing to local
_ds_store_b128 v[vgprLocalWriteAddrA], v[vgprG2LA+12:vgprG2LA+12+3] offset:3136 // lwoA_0_0_3_0 = (0*LSCA) + (3*LSPA)(*MT0I+PAD) = 3136
v_mfma_f32_16x16x32_bf8_fp8 a[168+0:171+0], v[vgprValuB_X0_I0+20+0+0:vgprValuB_X0_I0+20+0+0+1], v[vgprValuA_X0_I0+4+0+0:vgprValuA_X0_I0+4+0+0+1], a[168:171]
/*  mfmaIndex:43  */
_buffer_load_b128 v[vgprG2LA+12:vgprG2LA+12+3], v[vgprGlobalReadOffsetA+0], s[sgprSrdA:sgprSrdA+3], s[sgprScalarGlobalReadOffsetA+2], offen offset:0 // G -> Reg 0_0_3_0
v_mfma_f32_16x16x32_bf8_fp8 a[172+0:175+0], v[vgprValuB_X0_I0+20+0+0:vgprValuB_X0_I0+20+0+0+1], v[vgprValuA_X0_I0+6+0+0:vgprValuA_X0_I0+6+0+0+1], a[172:175]
/*  mfmaIndex:44  */
v_mfma_f32_16x16x32_bf8_fp8 a[188+0:191+0], v[vgprValuB_X0_I0+22+0+0:vgprValuB_X0_I0+22+0+0+1], v[vgprValuA_X0_I0+6+0+0:vgprValuA_X0_I0+6+0+0+1], a[188:191]
/*  mfmaIndex:45  */
/* sched write - iter 0 writesPerItem=1 */
s_waitcnt vmcnt(0)                                 // lgkmcnt=-1 vmcnt=0wait for global read before writing to local
_ds_store_b32 v[vgprLocalWriteAddrB], v[vgprG2LB+0] offset:0 // lwoB_0_0_0_0 = (0*LSCB)*(MT1J+PAD) + (0*LSPB) = 0
v_mfma_f32_16x16x32_bf8_fp8 a[184+0:187+0], v[vgprValuB_X0_I0+22+0+0:vgprValuB_X0_I0+22+0+0+1], v[vgprValuA_X0_I0+4+0+0:vgprValuA_X0_I0+4+0+0+1], a[184:187]
/*  mfmaIndex:46  */
_buffer_load_b32 v[vgprG2LB+0], v[vgprGlobalReadOffsetB+0], s[sgprSrdB:sgprSrdB+3], 0, offen offset:0 // G -> Reg 0_0_0_0
v_mfma_f32_16x16x32_bf8_fp8 a[180+0:183+0], v[vgprValuB_X0_I0+22+0+0:vgprValuB_X0_I0+22+0+0+1], v[vgprValuA_X0_I0+2+0+0:vgprValuA_X0_I0+2+0+0+1], a[180:183]
/*  mfmaIndex:47  */
v_mfma_f32_16x16x32_bf8_fp8 a[176+0:179+0], v[vgprValuB_X0_I0+22+0+0:vgprValuB_X0_I0+22+0+0+1], v[vgprValuA_X0_I0+0+0+0:vgprValuA_X0_I0+0+0+0+1], a[176:179]
/*  mfmaIndex:48  */
/* sched write - iter 0 writesPerItem=1 */
s_waitcnt vmcnt(0)                                 // lgkmcnt=-1 vmcnt=0wait for global read before writing to local
_ds_store_b32 v[vgprLocalWriteAddrB], v[vgprG2LB+1] offset:1088 // lwoB_0_0_1_0 = (0*LSCB)*(MT1J+PAD) + (1*LSPB) = 1088
v_mfma_f32_16x16x32_bf8_fp8 a[192+0:195+0], v[vgprValuB_X0_I0+24+0+0:vgprValuB_X0_I0+24+0+0+1], v[vgprValuA_X0_I0+0+0+0:vgprValuA_X0_I0+0+0+0+1], a[192:195]
/*  mfmaIndex:49  */
_buffer_load_b32 v[vgprG2LB+1], v[vgprGlobalReadOffsetB+0], s[sgprSrdB:sgprSrdB+3], s[sgprScalarGlobalReadOffsetB+0], offen offset:0 // G -> Reg 0_0_1_0
v_mfma_f32_16x16x32_bf8_fp8 a[196+0:199+0], v[vgprValuB_X0_I0+24+0+0:vgprValuB_X0_I0+24+0+0+1], v[vgprValuA_X0_I0+2+0+0:vgprValuA_X0_I0+2+0+0+1], a[196:199]
/*  mfmaIndex:50  */
v_mfma_f32_16x16x32_bf8_fp8 a[200+0:203+0], v[vgprValuB_X0_I0+24+0+0:vgprValuB_X0_I0+24+0+0+1], v[vgprValuA_X0_I0+4+0+0:vgprValuA_X0_I0+4+0+0+1], a[200:203]
/*  mfmaIndex:51  */
v_mfma_f32_16x16x32_bf8_fp8 a[204+0:207+0], v[vgprValuB_X0_I0+24+0+0:vgprValuB_X0_I0+24+0+0+1], v[vgprValuA_X0_I0+6+0+0:vgprValuA_X0_I0+6+0+0+1], a[204:207]
/*  mfmaIndex:52  */
/* sched write - iter 0 writesPerItem=1 */
s_waitcnt vmcnt(0)                                 // lgkmcnt=-1 vmcnt=0wait for global read before writing to local
_ds_store_b32 v[vgprLocalWriteAddrB], v[vgprG2LB+2] offset:2176 // lwoB_0_0_2_0 = (0*LSCB)*(MT1J+PAD) + (2*LSPB) = 2176
v_mfma_f32_16x16x32_bf8_fp8 a[220+0:223+0], v[vgprValuB_X0_I0+26+0+0:vgprValuB_X0_I0+26+0+0+1], v[vgprValuA_X0_I0+6+0+0:vgprValuA_X0_I0+6+0+0+1], a[220:223]
/*  mfmaIndex:53  */
_buffer_load_b32 v[vgprG2LB+2], v[vgprGlobalReadOffsetB+0], s[sgprSrdB:sgprSrdB+3], s[sgprScalarGlobalReadOffsetB+1], offen offset:0 // G -> Reg 0_0_2_0
v_mfma_f32_16x16x32_bf8_fp8 a[216+0:219+0], v[vgprValuB_X0_I0+26+0+0:vgprValuB_X0_I0+26+0+0+1], v[vgprValuA_X0_I0+4+0+0:vgprValuA_X0_I0+4+0+0+1], a[216:219]
/*  mfmaIndex:54  */
v_mfma_f32_16x16x32_bf8_fp8 a[212+0:215+0], v[vgprValuB_X0_I0+26+0+0:vgprValuB_X0_I0+26+0+0+1], v[vgprValuA_X0_I0+2+0+0:vgprValuA_X0_I0+2+0+0+1], a[212:215]
/*  mfmaIndex:55  */
/* sched write - iter 0 writesPerItem=1 */
s_waitcnt vmcnt(0)                                 // lgkmcnt=-1 vmcnt=0wait for global read before writing to local
_ds_store_b32 v[vgprLocalWriteAddrB], v[vgprG2LB+3] offset:3264 // lwoB_0_0_3_0 = (0*LSCB)*(MT1J+PAD) + (3*LSPB) = 3264
v_mfma_f32_16x16x32_bf8_fp8 a[208+0:211+0], v[vgprValuB_X0_I0+26+0+0:vgprValuB_X0_I0+26+0+0+1], v[vgprValuA_X0_I0+0+0+0:vgprValuA_X0_I0+0+0+0+1], a[208:211]
/*  mfmaIndex:56  */
_buffer_load_b32 v[vgprG2LB+3], v[vgprGlobalReadOffsetB+0], s[sgprSrdB:sgprSrdB+3], s[sgprScalarGlobalReadOffsetB+2], offen offset:0 // G -> Reg 0_0_3_0
v_mfma_f32_16x16x32_bf8_fp8 a[224+0:227+0], v[vgprValuB_X0_I0+28+0+0:vgprValuB_X0_I0+28+0+0+1], v[vgprValuA_X0_I0+0+0+0:vgprValuA_X0_I0+0+0+0+1], a[224:227]
/*  mfmaIndex:57  */
v_mfma_f32_16x16x32_bf8_fp8 a[228+0:231+0], v[vgprValuB_X0_I0+28+0+0:vgprValuB_X0_I0+28+0+0+1], v[vgprValuA_X0_I0+2+0+0:vgprValuA_X0_I0+2+0+0+1], a[228:231]
/*  mfmaIndex:58  */
/* sched write - iter 0 writesPerItem=1 */
s_waitcnt vmcnt(0)                                 // lgkmcnt=-1 vmcnt=0wait for global read before writing to local
_ds_store_b32 v[vgprLocalWriteAddrB], v[vgprG2LB+4] offset:4352 // lwoB_0_0_4_0 = (0*LSCB)*(MT1J+PAD) + (4*LSPB) = 4352
v_mfma_f32_16x16x32_bf8_fp8 a[232+0:235+0], v[vgprValuB_X0_I0+28+0+0:vgprValuB_X0_I0+28+0+0+1], v[vgprValuA_X0_I0+4+0+0:vgprValuA_X0_I0+4+0+0+1], a[232:235]
/*  mfmaIndex:59  */
_buffer_load_b32 v[vgprG2LB+4], v[vgprGlobalReadOffsetB+0], s[sgprSrdB:sgprSrdB+3], s[sgprScalarGlobalReadOffsetB+3], offen offset:0 // G -> Reg 0_0_4_0
v_mfma_f32_16x16x32_bf8_fp8 a[236+0:239+0], v[vgprValuB_X0_I0+28+0+0:vgprValuB_X0_I0+28+0+0+1], v[vgprValuA_X0_I0+6+0+0:vgprValuA_X0_I0+6+0+0+1], a[236:239]
/*  mfmaIndex:60  */
v_mfma_f32_16x16x32_bf8_fp8 a[252+0:255+0], v[vgprValuB_X0_I0+30+0+0:vgprValuB_X0_I0+30+0+0+1], v[vgprValuA_X0_I0+6+0+0:vgprValuA_X0_I0+6+0+0+1], a[252:255]
/*  mfmaIndex:61  */
	;; [unrolled: 2-line block ×3, first 2 shown]
/* sched write - iter 0 writesPerItem=1 */
s_waitcnt vmcnt(0)                                 // lgkmcnt=-1 vmcnt=0wait for global read before writing to local
_ds_store_b32 v[vgprLocalWriteAddrB], v[vgprG2LB+5] offset:5440 // lwoB_0_0_5_0 = (0*LSCB)*(MT1J+PAD) + (5*LSPB) = 5440
v_mfma_f32_16x16x32_bf8_fp8 a[244+0:247+0], v[vgprValuB_X0_I0+30+0+0:vgprValuB_X0_I0+30+0+0+1], v[vgprValuA_X0_I0+2+0+0:vgprValuA_X0_I0+2+0+0+1], a[244:247]
/*  mfmaIndex:63  */
_buffer_load_b32 v[vgprG2LB+5], v[vgprGlobalReadOffsetB+0], s[sgprSrdB:sgprSrdB+3], s[sgprScalarGlobalReadOffsetB+4], offen offset:0 // G -> Reg 0_0_5_0

/* local read swap offsets a */

/* local read swap offsets b */

/* local read init pointers a */

/* localReadInitPointers */

/* local read init pointers b */

/* localReadInitPointers */
v_mfma_f32_16x16x32_bf8_fp8 a[240+0:243+0], v[vgprValuB_X0_I0+30+0+0:vgprValuB_X0_I0+30+0+0+1], v[vgprValuA_X0_I0+0+0+0:vgprValuA_X0_I0+0+0+0+1], a[240:243]
/* numPrefetchIter=0 */
/* dataAtIterA=-1 numReadsIterA=1 skipReadsIterA=1 readsPerIterA=8 */
/* dataAtIterB=-1 numReadsIterB=1 skipReadsIterB=1 readsPerIterB=16 */


/* iter 1 (swap and reset local write pointers iteration)  */

/*  grEndMfmaIndex:18, lwStartMfmaIndex:32, lwEndMfmaIndex:96  */
/*  numMfmaForLR:29, barrierMfmaIndex:98, LocalWritePerMfma:0.300 */
/*  mfmaIndex:64  */
/* pack scheduling: packAIdx:6, packBIdx:0 */
v_perm_b32 v[vgprValuA_X1_I0+0], v[vgprValuA_X1_I0_D1+0], v[vgprValuA_X1_I0_D0+0], s[sgprPackKForV0] // select K=01 for vector=0
v_perm_b32 v[vgprPackTemp], v[vgprValuA_X1_I0_D3+0], v[vgprValuA_X1_I0_D2+0], s[sgprPackKForV0] // select K=23 for vector=0
_v_lshl_or_b32 v[vgprValuA_X1_I0+0], v[vgprPackTemp], 0x10, v[vgprValuA_X1_I0+0] // pack two half Vgpr to one Vgpr
v_perm_b32 v[vgprValuA_X1_I0+1], v[vgprValuA_X1_I0_D5+0], v[vgprValuA_X1_I0_D4+0], s[sgprPackKForV0] // select K=45 for vector=0
v_perm_b32 v[vgprPackTemp], v[vgprValuA_X1_I0_D7+0], v[vgprValuA_X1_I0_D6+0], s[sgprPackKForV0] // select K=67 for vector=0
_v_lshl_or_b32 v[vgprValuA_X1_I0+1], v[vgprPackTemp], 0x10, v[vgprValuA_X1_I0+1] // pack two half Vgpr to one Vgpr
v_perm_b32 v[vgprValuA_X1_I0+2], v[vgprValuA_X1_I0_D1+0], v[vgprValuA_X1_I0_D0+0], s[sgprPackKForV1] // select K=01 for vector=1
v_perm_b32 v[vgprPackTemp], v[vgprValuA_X1_I0_D3+0], v[vgprValuA_X1_I0_D2+0], s[sgprPackKForV1] // select K=23 for vector=1
_v_lshl_or_b32 v[vgprValuA_X1_I0+2], v[vgprPackTemp], 0x10, v[vgprValuA_X1_I0+2] // pack two half Vgpr to one Vgpr
v_perm_b32 v[vgprValuA_X1_I0+3], v[vgprValuA_X1_I0_D5+0], v[vgprValuA_X1_I0_D4+0], s[sgprPackKForV1] // select K=45 for vector=1
v_perm_b32 v[vgprPackTemp], v[vgprValuA_X1_I0_D7+0], v[vgprValuA_X1_I0_D6+0], s[sgprPackKForV1] // select K=67 for vector=1
_v_lshl_or_b32 v[vgprValuA_X1_I0+3], v[vgprPackTemp], 0x10, v[vgprValuA_X1_I0+3] // pack two half Vgpr to one Vgpr
v_mfma_f32_16x16x32_bf8_fp8 a[0+0:3+0], v[vgprValuB_X1_I0+0+0+0:vgprValuB_X1_I0+0+0+0+1], v[vgprValuA_X1_I0+0+0+0:vgprValuA_X1_I0+0+0+0+1], a[0:3]
/*  mfmaIndex:65  */
/* sched write - iter 1 writesPerItem=1 */
s_waitcnt vmcnt(0)                                 // lgkmcnt=-1 vmcnt=0wait for global read before writing to local
_ds_store_b32 v[vgprLocalWriteAddrB], v[vgprG2LB+6] offset:6528 // lwoB_0_0_6_0 = (0*LSCB)*(MT1J+PAD) + (6*LSPB) = 6528
/* pack scheduling: packAIdx:12, packBIdx:0 */
v_perm_b32 v[vgprValuA_X1_I0+4], v[vgprValuA_X1_I0_D1+0], v[vgprValuA_X1_I0_D0+0], s[sgprPackKForV2] // select K=01 for vector=2
v_perm_b32 v[vgprPackTemp], v[vgprValuA_X1_I0_D3+0], v[vgprValuA_X1_I0_D2+0], s[sgprPackKForV2] // select K=23 for vector=2
_v_lshl_or_b32 v[vgprValuA_X1_I0+4], v[vgprPackTemp], 0x10, v[vgprValuA_X1_I0+4] // pack two half Vgpr to one Vgpr
v_perm_b32 v[vgprValuA_X1_I0+5], v[vgprValuA_X1_I0_D5+0], v[vgprValuA_X1_I0_D4+0], s[sgprPackKForV2] // select K=45 for vector=2
v_perm_b32 v[vgprPackTemp], v[vgprValuA_X1_I0_D7+0], v[vgprValuA_X1_I0_D6+0], s[sgprPackKForV2] // select K=67 for vector=2
_v_lshl_or_b32 v[vgprValuA_X1_I0+5], v[vgprPackTemp], 0x10, v[vgprValuA_X1_I0+5] // pack two half Vgpr to one Vgpr
v_mfma_f32_16x16x32_bf8_fp8 a[4+0:7+0], v[vgprValuB_X1_I0+0+0+0:vgprValuB_X1_I0+0+0+0+1], v[vgprValuA_X1_I0+2+0+0:vgprValuA_X1_I0+2+0+0+1], a[4:7]
/*  mfmaIndex:66  */
_buffer_load_b32 v[vgprG2LB+6], v[vgprGlobalReadOffsetB+0], s[sgprSrdB:sgprSrdB+3], s[sgprScalarGlobalReadOffsetB+5], offen offset:0 // G -> Reg 0_0_6_0
/* pack scheduling: packAIdx:18, packBIdx:0 */
v_perm_b32 v[vgprValuA_X1_I0+6], v[vgprValuA_X1_I0_D1+0], v[vgprValuA_X1_I0_D0+0], s[sgprPackKForV3] // select K=01 for vector=3
v_perm_b32 v[vgprPackTemp], v[vgprValuA_X1_I0_D3+0], v[vgprValuA_X1_I0_D2+0], s[sgprPackKForV3] // select K=23 for vector=3
_v_lshl_or_b32 v[vgprValuA_X1_I0+6], v[vgprPackTemp], 0x10, v[vgprValuA_X1_I0+6] // pack two half Vgpr to one Vgpr
v_perm_b32 v[vgprValuA_X1_I0+7], v[vgprValuA_X1_I0_D5+0], v[vgprValuA_X1_I0_D4+0], s[sgprPackKForV3] // select K=45 for vector=3
v_perm_b32 v[vgprPackTemp], v[vgprValuA_X1_I0_D7+0], v[vgprValuA_X1_I0_D6+0], s[sgprPackKForV3] // select K=67 for vector=3
_v_lshl_or_b32 v[vgprValuA_X1_I0+7], v[vgprPackTemp], 0x10, v[vgprValuA_X1_I0+7] // pack two half Vgpr to one Vgpr
v_mfma_f32_16x16x32_bf8_fp8 a[8+0:11+0], v[vgprValuB_X1_I0+0+0+0:vgprValuB_X1_I0+0+0+0+1], v[vgprValuA_X1_I0+4+0+0:vgprValuA_X1_I0+4+0+0+1], a[8:11]
/*  mfmaIndex:67  */
v_mfma_f32_16x16x32_bf8_fp8 a[12+0:15+0], v[vgprValuB_X1_I0+0+0+0:vgprValuB_X1_I0+0+0+0+1], v[vgprValuA_X1_I0+6+0+0:vgprValuA_X1_I0+6+0+0+1], a[12:15]
/*  mfmaIndex:68  */
/* sched write - iter 1 writesPerItem=1 */
s_waitcnt vmcnt(0)                                 // lgkmcnt=-1 vmcnt=0wait for global read before writing to local
_ds_store_b32 v[vgprLocalWriteAddrB], v[vgprG2LB+7] offset:7616 // lwoB_0_0_7_0 = (0*LSCB)*(MT1J+PAD) + (7*LSPB) = 7616
v_mfma_f32_16x16x32_bf8_fp8 a[28+0:31+0], v[vgprValuB_X1_I0+2+0+0:vgprValuB_X1_I0+2+0+0+1], v[vgprValuA_X1_I0+6+0+0:vgprValuA_X1_I0+6+0+0+1], a[28:31]
/*  mfmaIndex:69  */
_buffer_load_b32 v[vgprG2LB+7], v[vgprGlobalReadOffsetB+0], s[sgprSrdB:sgprSrdB+3], s[sgprScalarGlobalReadOffsetB+6], offen offset:0 // G -> Reg 0_0_7_0
v_mfma_f32_16x16x32_bf8_fp8 a[24+0:27+0], v[vgprValuB_X1_I0+2+0+0:vgprValuB_X1_I0+2+0+0+1], v[vgprValuA_X1_I0+4+0+0:vgprValuA_X1_I0+4+0+0+1], a[24:27]
/*  mfmaIndex:70  */
v_mfma_f32_16x16x32_bf8_fp8 a[20+0:23+0], v[vgprValuB_X1_I0+2+0+0:vgprValuB_X1_I0+2+0+0+1], v[vgprValuA_X1_I0+2+0+0:vgprValuA_X1_I0+2+0+0+1], a[20:23]
/*  mfmaIndex:71  */
	;; [unrolled: 2-line block ×3, first 2 shown]
/* sched write - iter 1 writesPerItem=1 */
s_waitcnt vmcnt(0)                                 // lgkmcnt=-1 vmcnt=0wait for global read before writing to local
_ds_store_b32 v[vgprLocalWriteAddrB], v[vgprG2LB+8] offset:8704 // lwoB_0_0_8_0 = (0*LSCB)*(MT1J+PAD) + (8*LSPB) = 8704
v_mfma_f32_16x16x32_bf8_fp8 a[32+0:35+0], v[vgprValuB_X1_I0+4+0+0:vgprValuB_X1_I0+4+0+0+1], v[vgprValuA_X1_I0+0+0+0:vgprValuA_X1_I0+0+0+0+1], a[32:35]
/*  mfmaIndex:73  */
_buffer_load_b32 v[vgprG2LB+8], v[vgprGlobalReadOffsetB+0], s[sgprSrdB:sgprSrdB+3], s[sgprScalarGlobalReadOffsetB+7], offen offset:0 // G -> Reg 0_0_8_0
v_mfma_f32_16x16x32_bf8_fp8 a[36+0:39+0], v[vgprValuB_X1_I0+4+0+0:vgprValuB_X1_I0+4+0+0+1], v[vgprValuA_X1_I0+2+0+0:vgprValuA_X1_I0+2+0+0+1], a[36:39]
/*  mfmaIndex:74  */
v_mfma_f32_16x16x32_bf8_fp8 a[40+0:43+0], v[vgprValuB_X1_I0+4+0+0:vgprValuB_X1_I0+4+0+0+1], v[vgprValuA_X1_I0+4+0+0:vgprValuA_X1_I0+4+0+0+1], a[40:43]
/*  mfmaIndex:75  */
/* sched write - iter 1 writesPerItem=1 */
s_waitcnt vmcnt(0)                                 // lgkmcnt=-1 vmcnt=0wait for global read before writing to local
_ds_store_b32 v[vgprLocalWriteAddrB], v[vgprG2LB+9] offset:9792 // lwoB_0_0_9_0 = (0*LSCB)*(MT1J+PAD) + (9*LSPB) = 9792
v_mfma_f32_16x16x32_bf8_fp8 a[44+0:47+0], v[vgprValuB_X1_I0+4+0+0:vgprValuB_X1_I0+4+0+0+1], v[vgprValuA_X1_I0+6+0+0:vgprValuA_X1_I0+6+0+0+1], a[44:47]
/*  mfmaIndex:76  */
_buffer_load_b32 v[vgprG2LB+9], v[vgprGlobalReadOffsetB+0], s[sgprSrdB:sgprSrdB+3], s[sgprScalarGlobalReadOffsetB+8], offen offset:0 // G -> Reg 0_0_9_0
v_mfma_f32_16x16x32_bf8_fp8 a[60+0:63+0], v[vgprValuB_X1_I0+6+0+0:vgprValuB_X1_I0+6+0+0+1], v[vgprValuA_X1_I0+6+0+0:vgprValuA_X1_I0+6+0+0+1], a[60:63]
/*  mfmaIndex:77  */
v_mfma_f32_16x16x32_bf8_fp8 a[56+0:59+0], v[vgprValuB_X1_I0+6+0+0:vgprValuB_X1_I0+6+0+0+1], v[vgprValuA_X1_I0+4+0+0:vgprValuA_X1_I0+4+0+0+1], a[56:59]
/*  mfmaIndex:78  */
/* sched write - iter 1 writesPerItem=1 */
s_waitcnt vmcnt(0)                                 // lgkmcnt=-1 vmcnt=0wait for global read before writing to local
_ds_store_b32 v[vgprLocalWriteAddrB], v[vgprG2LB+10] offset:10880 // lwoB_0_0_10_0 = (0*LSCB)*(MT1J+PAD) + (10*LSPB) = 10880
v_mfma_f32_16x16x32_bf8_fp8 a[52+0:55+0], v[vgprValuB_X1_I0+6+0+0:vgprValuB_X1_I0+6+0+0+1], v[vgprValuA_X1_I0+2+0+0:vgprValuA_X1_I0+2+0+0+1], a[52:55]
/*  mfmaIndex:79  */
_buffer_load_b32 v[vgprG2LB+10], v[vgprGlobalReadOffsetB+0], s[sgprSrdB:sgprSrdB+3], s[sgprScalarGlobalReadOffsetB+9], offen offset:0 // G -> Reg 0_0_10_0
v_mfma_f32_16x16x32_bf8_fp8 a[48+0:51+0], v[vgprValuB_X1_I0+6+0+0:vgprValuB_X1_I0+6+0+0+1], v[vgprValuA_X1_I0+0+0+0:vgprValuA_X1_I0+0+0+0+1], a[48:51]
/*  mfmaIndex:80  */
v_mfma_f32_16x16x32_bf8_fp8 a[64+0:67+0], v[vgprValuB_X1_I0+8+0+0:vgprValuB_X1_I0+8+0+0+1], v[vgprValuA_X1_I0+0+0+0:vgprValuA_X1_I0+0+0+0+1], a[64:67]
/*  mfmaIndex:81  */
	;; [unrolled: 2-line block ×3, first 2 shown]
/* sched write - iter 1 writesPerItem=1 */
s_waitcnt vmcnt(0)                                 // lgkmcnt=-1 vmcnt=0wait for global read before writing to local
_ds_store_b32 v[vgprLocalWriteAddrB], v[vgprG2LB+11] offset:11968 // lwoB_0_0_11_0 = (0*LSCB)*(MT1J+PAD) + (11*LSPB) = 11968
v_mfma_f32_16x16x32_bf8_fp8 a[72+0:75+0], v[vgprValuB_X1_I0+8+0+0:vgprValuB_X1_I0+8+0+0+1], v[vgprValuA_X1_I0+4+0+0:vgprValuA_X1_I0+4+0+0+1], a[72:75]
/*  mfmaIndex:83  */
_buffer_load_b32 v[vgprG2LB+11], v[vgprGlobalReadOffsetB+0], s[sgprSrdB:sgprSrdB+3], s[sgprScalarGlobalReadOffsetB+10], offen offset:0 // G -> Reg 0_0_11_0
v_mfma_f32_16x16x32_bf8_fp8 a[76+0:79+0], v[vgprValuB_X1_I0+8+0+0:vgprValuB_X1_I0+8+0+0+1], v[vgprValuA_X1_I0+6+0+0:vgprValuA_X1_I0+6+0+0+1], a[76:79]
/*  mfmaIndex:84  */
v_mfma_f32_16x16x32_bf8_fp8 a[92+0:95+0], v[vgprValuB_X1_I0+10+0+0:vgprValuB_X1_I0+10+0+0+1], v[vgprValuA_X1_I0+6+0+0:vgprValuA_X1_I0+6+0+0+1], a[92:95]
/*  mfmaIndex:85  */
/* sched write - iter 1 writesPerItem=1 */
s_waitcnt vmcnt(0)                                 // lgkmcnt=-1 vmcnt=0wait for global read before writing to local
_ds_store_b32 v[vgprLocalWriteAddrB], v[vgprG2LB+12] offset:13056 // lwoB_0_0_12_0 = (0*LSCB)*(MT1J+PAD) + (12*LSPB) = 13056
v_mfma_f32_16x16x32_bf8_fp8 a[88+0:91+0], v[vgprValuB_X1_I0+10+0+0:vgprValuB_X1_I0+10+0+0+1], v[vgprValuA_X1_I0+4+0+0:vgprValuA_X1_I0+4+0+0+1], a[88:91]
/*  mfmaIndex:86  */
_buffer_load_b32 v[vgprG2LB+12], v[vgprGlobalReadOffsetB+0], s[sgprSrdB:sgprSrdB+3], s[sgprScalarGlobalReadOffsetB+11], offen offset:0 // G -> Reg 0_0_12_0
v_mfma_f32_16x16x32_bf8_fp8 a[84+0:87+0], v[vgprValuB_X1_I0+10+0+0:vgprValuB_X1_I0+10+0+0+1], v[vgprValuA_X1_I0+2+0+0:vgprValuA_X1_I0+2+0+0+1], a[84:87]
/*  mfmaIndex:87  */
v_mfma_f32_16x16x32_bf8_fp8 a[80+0:83+0], v[vgprValuB_X1_I0+10+0+0:vgprValuB_X1_I0+10+0+0+1], v[vgprValuA_X1_I0+0+0+0:vgprValuA_X1_I0+0+0+0+1], a[80:83]
/*  mfmaIndex:88  */
/* sched write - iter 1 writesPerItem=1 */
s_waitcnt vmcnt(0)                                 // lgkmcnt=-1 vmcnt=0wait for global read before writing to local
_ds_store_b32 v[vgprLocalWriteAddrB], v[vgprG2LB+13] offset:14144 // lwoB_0_0_13_0 = (0*LSCB)*(MT1J+PAD) + (13*LSPB) = 14144
v_mfma_f32_16x16x32_bf8_fp8 a[96+0:99+0], v[vgprValuB_X1_I0+12+0+0:vgprValuB_X1_I0+12+0+0+1], v[vgprValuA_X1_I0+0+0+0:vgprValuA_X1_I0+0+0+0+1], a[96:99]
/*  mfmaIndex:89  */
_buffer_load_b32 v[vgprG2LB+13], v[vgprGlobalReadOffsetB+0], s[sgprSrdB:sgprSrdB+3], s[sgprScalarGlobalReadOffsetB+12], offen offset:0 // G -> Reg 0_0_13_0
v_mfma_f32_16x16x32_bf8_fp8 a[100+0:103+0], v[vgprValuB_X1_I0+12+0+0:vgprValuB_X1_I0+12+0+0+1], v[vgprValuA_X1_I0+2+0+0:vgprValuA_X1_I0+2+0+0+1], a[100:103]
/*  mfmaIndex:90  */
v_mfma_f32_16x16x32_bf8_fp8 a[104+0:107+0], v[vgprValuB_X1_I0+12+0+0:vgprValuB_X1_I0+12+0+0+1], v[vgprValuA_X1_I0+4+0+0:vgprValuA_X1_I0+4+0+0+1], a[104:107]
/*  mfmaIndex:91  */
	;; [unrolled: 2-line block ×3, first 2 shown]
/* sched write - iter 1 writesPerItem=1 */
s_waitcnt vmcnt(0)                                 // lgkmcnt=-1 vmcnt=0wait for global read before writing to local
_ds_store_b32 v[vgprLocalWriteAddrB], v[vgprG2LB+14] offset:15232 // lwoB_0_0_14_0 = (0*LSCB)*(MT1J+PAD) + (14*LSPB) = 15232
v_mfma_f32_16x16x32_bf8_fp8 a[124+0:127+0], v[vgprValuB_X1_I0+14+0+0:vgprValuB_X1_I0+14+0+0+1], v[vgprValuA_X1_I0+6+0+0:vgprValuA_X1_I0+6+0+0+1], a[124:127]
/*  mfmaIndex:93  */
_buffer_load_b32 v[vgprG2LB+14], v[vgprGlobalReadOffsetB+0], s[sgprSrdB:sgprSrdB+3], s[sgprScalarGlobalReadOffsetB+13], offen offset:0 // G -> Reg 0_0_14_0
v_mfma_f32_16x16x32_bf8_fp8 a[120+0:123+0], v[vgprValuB_X1_I0+14+0+0:vgprValuB_X1_I0+14+0+0+1], v[vgprValuA_X1_I0+4+0+0:vgprValuA_X1_I0+4+0+0+1], a[120:123]
/*  mfmaIndex:94  */
v_mfma_f32_16x16x32_bf8_fp8 a[116+0:119+0], v[vgprValuB_X1_I0+14+0+0:vgprValuB_X1_I0+14+0+0+1], v[vgprValuA_X1_I0+2+0+0:vgprValuA_X1_I0+2+0+0+1], a[116:119]
/*  mfmaIndex:95  */
/* sched write - iter 1 writesPerItem=1 */
s_waitcnt vmcnt(0)                                 // lgkmcnt=-1 vmcnt=0wait for global read before writing to local
_ds_store_b32 v[vgprLocalWriteAddrB], v[vgprG2LB+15] offset:16320 // lwoB_0_0_15_0 = (0*LSCB)*(MT1J+PAD) + (15*LSPB) = 16320
v_mfma_f32_16x16x32_bf8_fp8 a[112+0:115+0], v[vgprValuB_X1_I0+14+0+0:vgprValuB_X1_I0+14+0+0+1], v[vgprValuA_X1_I0+0+0+0:vgprValuA_X1_I0+0+0+0+1], a[112:115]
/*  mfmaIndex:96  */
_buffer_load_b32 v[vgprG2LB+15], v[vgprGlobalReadOffsetB+0], s[sgprSrdB:sgprSrdB+3], s[sgprScalarGlobalReadOffsetB+14], offen offset:0 // G -> Reg 0_0_15_0

/* local write swap offsets a */

/* local write swap offsets b */
v_mfma_f32_16x16x32_bf8_fp8 a[128+0:131+0], v[vgprValuB_X1_I0+16+0+0:vgprValuB_X1_I0+16+0+0+1], v[vgprValuA_X1_I0+0+0+0:vgprValuA_X1_I0+0+0+0+1], a[128:131]
/*  mfmaIndex:97  */
v_mfma_f32_16x16x32_bf8_fp8 a[132+0:135+0], v[vgprValuB_X1_I0+16+0+0:vgprValuB_X1_I0+16+0+0+1], v[vgprValuA_X1_I0+2+0+0:vgprValuA_X1_I0+2+0+0+1], a[132:135]
s_setprio 0                                        // store optimization
/*  mfmaIndex:98  */
s_waitcnt lgkmcnt(0)                               // lgkmcnt=0 vmcnt=-13wait for local write
// Skip force waitcnt0
s_barrier //
v_mfma_f32_16x16x32_bf8_fp8 a[136+0:139+0], v[vgprValuB_X1_I0+16+0+0:vgprValuB_X1_I0+16+0+0+1], v[vgprValuA_X1_I0+4+0+0:vgprValuA_X1_I0+4+0+0+1], a[136:139]
/*  mfmaIndex:99  */
s_setprio 3                                        // store optimization
_ds_load_b32 v[vgprValuA_X0_I0_D0+0], v[vgprLocalReadAddrA] offset:0 // L -> Reg lro=0 swapByteOffset=0 ti=256 vIdx=0 rIdx=0 oIdx=0 buffer=0 iui=0
v_mfma_f32_16x16x32_bf8_fp8 a[140+0:143+0], v[vgprValuB_X1_I0+16+0+0:vgprValuB_X1_I0+16+0+0+1], v[vgprValuA_X1_I0+6+0+0:vgprValuA_X1_I0+6+0+0+1], a[140:143]
/*  mfmaIndex:100  */
_ds_load_b32 v[vgprValuA_X0_I0_D1+0], v[vgprLocalReadAddrA] offset:256 // L -> Reg lro=0 swapByteOffset=0 ti=256 vIdx=0 rIdx=1 oIdx=0 buffer=0 iui=0
v_mfma_f32_16x16x32_bf8_fp8 a[156+0:159+0], v[vgprValuB_X1_I0+18+0+0:vgprValuB_X1_I0+18+0+0+1], v[vgprValuA_X1_I0+6+0+0:vgprValuA_X1_I0+6+0+0+1], a[156:159]
/*  mfmaIndex:101  */
_ds_load_b32 v[vgprValuA_X0_I0_D2+0], v[vgprLocalReadAddrA] offset:512 // L -> Reg lro=0 swapByteOffset=0 ti=256 vIdx=0 rIdx=2 oIdx=0 buffer=0 iui=0
v_mfma_f32_16x16x32_bf8_fp8 a[152+0:155+0], v[vgprValuB_X1_I0+18+0+0:vgprValuB_X1_I0+18+0+0+1], v[vgprValuA_X1_I0+4+0+0:vgprValuA_X1_I0+4+0+0+1], a[152:155]
/*  mfmaIndex:102  */
_ds_load_b32 v[vgprValuA_X0_I0_D3+0], v[vgprLocalReadAddrA] offset:768 // L -> Reg lro=0 swapByteOffset=0 ti=256 vIdx=0 rIdx=3 oIdx=0 buffer=0 iui=0
v_mfma_f32_16x16x32_bf8_fp8 a[148+0:151+0], v[vgprValuB_X1_I0+18+0+0:vgprValuB_X1_I0+18+0+0+1], v[vgprValuA_X1_I0+2+0+0:vgprValuA_X1_I0+2+0+0+1], a[148:151]
/*  mfmaIndex:103  */
_ds_load_b32 v[vgprValuA_X0_I0_D4+0], v[vgprLocalReadAddrA] offset:1024 // L -> Reg lro=0 swapByteOffset=0 ti=256 vIdx=0 rIdx=4 oIdx=0 buffer=0 iui=0
v_mfma_f32_16x16x32_bf8_fp8 a[144+0:147+0], v[vgprValuB_X1_I0+18+0+0:vgprValuB_X1_I0+18+0+0+1], v[vgprValuA_X1_I0+0+0+0:vgprValuA_X1_I0+0+0+0+1], a[144:147]
/*  mfmaIndex:104  */
_ds_load_b32 v[vgprValuA_X0_I0_D5+0], v[vgprLocalReadAddrA] offset:1280 // L -> Reg lro=0 swapByteOffset=0 ti=256 vIdx=0 rIdx=5 oIdx=0 buffer=0 iui=0
v_mfma_f32_16x16x32_bf8_fp8 a[160+0:163+0], v[vgprValuB_X1_I0+20+0+0:vgprValuB_X1_I0+20+0+0+1], v[vgprValuA_X1_I0+0+0+0:vgprValuA_X1_I0+0+0+0+1], a[160:163]
/*  mfmaIndex:105  */
_ds_load_b32 v[vgprValuA_X0_I0_D6+0], v[vgprLocalReadAddrA] offset:1536 // L -> Reg lro=0 swapByteOffset=0 ti=256 vIdx=0 rIdx=6 oIdx=0 buffer=0 iui=0
v_mfma_f32_16x16x32_bf8_fp8 a[164+0:167+0], v[vgprValuB_X1_I0+20+0+0:vgprValuB_X1_I0+20+0+0+1], v[vgprValuA_X1_I0+2+0+0:vgprValuA_X1_I0+2+0+0+1], a[164:167]
/*  mfmaIndex:106  */
_ds_load_b32 v[vgprValuA_X0_I0_D7+0], v[vgprLocalReadAddrA] offset:1792 // L -> Reg lro=0 swapByteOffset=0 ti=256 vIdx=0 rIdx=7 oIdx=0 buffer=0 iui=0
v_mfma_f32_16x16x32_bf8_fp8 a[168+0:171+0], v[vgprValuB_X1_I0+20+0+0:vgprValuB_X1_I0+20+0+0+1], v[vgprValuA_X1_I0+4+0+0:vgprValuA_X1_I0+4+0+0+1], a[168:171]
/*  mfmaIndex:107  */
_ds_load_b64 v[vgprValuB_X0_I0+0:vgprValuB_X0_I0+0+1], v[vgprLocalReadAddrB] offset:0 // L -> Reg lro=0 swapByteOffset=0 ti=16 vIdx=0 rIdx=0 oIdx=0 buffer=0 iui=0
v_mfma_f32_16x16x32_bf8_fp8 a[172+0:175+0], v[vgprValuB_X1_I0+20+0+0:vgprValuB_X1_I0+20+0+0+1], v[vgprValuA_X1_I0+6+0+0:vgprValuA_X1_I0+6+0+0+1], a[172:175]
/*  mfmaIndex:108  */
_ds_load_b64 v[vgprValuB_X0_I0+2:vgprValuB_X0_I0+2+1], v[vgprLocalReadAddrB] offset:1088 // L -> Reg lro=0 swapByteOffset=0 ti=16 vIdx=1 rIdx=0 oIdx=0 buffer=0 iui=0
	;; [unrolled: 3-line block ×16, first 2 shown]
v_mfma_f32_16x16x32_bf8_fp8 a[232+0:235+0], v[vgprValuB_X1_I0+28+0+0:vgprValuB_X1_I0+28+0+0+1], v[vgprValuA_X1_I0+4+0+0:vgprValuA_X1_I0+4+0+0+1], a[232:235]
/*  mfmaIndex:123  */
v_mfma_f32_16x16x32_bf8_fp8 a[236+0:239+0], v[vgprValuB_X1_I0+28+0+0:vgprValuB_X1_I0+28+0+0+1], v[vgprValuA_X1_I0+6+0+0:vgprValuA_X1_I0+6+0+0+1], a[236:239]
/*  mfmaIndex:124  */
	;; [unrolled: 2-line block ×5, first 2 shown]
v_mfma_f32_16x16x32_bf8_fp8 a[240+0:243+0], v[vgprValuB_X1_I0+30+0+0:vgprValuB_X1_I0+30+0+0+1], v[vgprValuA_X1_I0+0+0+0:vgprValuA_X1_I0+0+0+0+1], a[240:243]
s_setprio 0                                        // store optimization


/******************************************/
/* Unrolled Loop - End 2/2 (final)        */
/******************************************/


/* closeLoop loopL finalLoop=1 tailLoop=0 */
s_sub_u32 s[sgprLoopCounterL], s[sgprLoopCounterL], 1 // dec counterL
s_cmp_eq_i32 s[sgprLoopCounterL], 0x2              // counterL==2
s_cbranch_scc0 LoopBeginL_1                        // restart LoopL
LoopEndL_evenexit_4: // unroll loop eveniter exit
s_branch LoopEndL_2                                // exit unroll loopL (and skip second exit code)
LoopEndL_oddexit_3: // unroll loop odditer exit

/* Select high bank of LDS */
LoopEndL_2:


/* Before NLL: Check VGPR.checkin for INT8 LW */


/******************************************/
/* Ord. NoGlobalLoadLoop - Begin                                      */
/******************************************/


	;; [unrolled: 1-line block ×3, first 2 shown]
/* iter 0 (reset local read pointers iteration)  (swap local read pointers iteration)  */

/*  grEndMfmaIndex:18, lwStartMfmaIndex:32, lwEndMfmaIndex:96  */
/*  numMfmaForLR:29, barrierMfmaIndex:98, LocalWritePerMfma:0.300 */
/*  mfmaIndex:0  */
s_waitcnt lgkmcnt(0)                               // lgkmcnt=0 vmcnt=-1wait for prior local read local write old=0, new=0 newLW=0 newLR=0
/* pack scheduling: packAIdx:6, packBIdx:0 */
v_perm_b32 v[vgprValuA_X0_I0+0], v[vgprValuA_X0_I0_D1+0], v[vgprValuA_X0_I0_D0+0], s[sgprPackKForV0] // select K=01 for vector=0
v_perm_b32 v[vgprPackTemp], v[vgprValuA_X0_I0_D3+0], v[vgprValuA_X0_I0_D2+0], s[sgprPackKForV0] // select K=23 for vector=0
_v_lshl_or_b32 v[vgprValuA_X0_I0+0], v[vgprPackTemp], 0x10, v[vgprValuA_X0_I0+0] // pack two half Vgpr to one Vgpr
v_perm_b32 v[vgprValuA_X0_I0+1], v[vgprValuA_X0_I0_D5+0], v[vgprValuA_X0_I0_D4+0], s[sgprPackKForV0] // select K=45 for vector=0
v_perm_b32 v[vgprPackTemp], v[vgprValuA_X0_I0_D7+0], v[vgprValuA_X0_I0_D6+0], s[sgprPackKForV0] // select K=67 for vector=0
_v_lshl_or_b32 v[vgprValuA_X0_I0+1], v[vgprPackTemp], 0x10, v[vgprValuA_X0_I0+1] // pack two half Vgpr to one Vgpr
v_perm_b32 v[vgprValuA_X0_I0+2], v[vgprValuA_X0_I0_D1+0], v[vgprValuA_X0_I0_D0+0], s[sgprPackKForV1] // select K=01 for vector=1
v_perm_b32 v[vgprPackTemp], v[vgprValuA_X0_I0_D3+0], v[vgprValuA_X0_I0_D2+0], s[sgprPackKForV1] // select K=23 for vector=1
_v_lshl_or_b32 v[vgprValuA_X0_I0+2], v[vgprPackTemp], 0x10, v[vgprValuA_X0_I0+2] // pack two half Vgpr to one Vgpr
v_perm_b32 v[vgprValuA_X0_I0+3], v[vgprValuA_X0_I0_D5+0], v[vgprValuA_X0_I0_D4+0], s[sgprPackKForV1] // select K=45 for vector=1
v_perm_b32 v[vgprPackTemp], v[vgprValuA_X0_I0_D7+0], v[vgprValuA_X0_I0_D6+0], s[sgprPackKForV1] // select K=67 for vector=1
_v_lshl_or_b32 v[vgprValuA_X0_I0+3], v[vgprPackTemp], 0x10, v[vgprValuA_X0_I0+3] // pack two half Vgpr to one Vgpr
v_mfma_f32_16x16x32_bf8_fp8 a[0+0:3+0], v[vgprValuB_X0_I0+0+0+0:vgprValuB_X0_I0+0+0+0+1], v[vgprValuA_X0_I0+0+0+0:vgprValuA_X0_I0+0+0+0+1], a[0:3]
/*  mfmaIndex:1  */
_ds_load_b32 v[vgprValuA_X1_I0_D0+0], v[vgprLocalReadAddrA] offset:8448 // L -> Reg lro=8192 swapByteOffset=0 ti=256 vIdx=0 rIdx=0 oIdx=0 buffer=1 iui=0

/* global read inc A loopL */
s_cmp_eq_u32 s[sgprLoopCounterL], s[sgprStaggerUIter] // Is this the wrapIter?
/* pack scheduling: packAIdx:12, packBIdx:0 */
v_perm_b32 v[vgprValuA_X0_I0+4], v[vgprValuA_X0_I0_D1+0], v[vgprValuA_X0_I0_D0+0], s[sgprPackKForV2] // select K=01 for vector=2
v_perm_b32 v[vgprPackTemp], v[vgprValuA_X0_I0_D3+0], v[vgprValuA_X0_I0_D2+0], s[sgprPackKForV2] // select K=23 for vector=2
_v_lshl_or_b32 v[vgprValuA_X0_I0+4], v[vgprPackTemp], 0x10, v[vgprValuA_X0_I0+4] // pack two half Vgpr to one Vgpr
v_perm_b32 v[vgprValuA_X0_I0+5], v[vgprValuA_X0_I0_D5+0], v[vgprValuA_X0_I0_D4+0], s[sgprPackKForV2] // select K=45 for vector=2
v_perm_b32 v[vgprPackTemp], v[vgprValuA_X0_I0_D7+0], v[vgprValuA_X0_I0_D6+0], s[sgprPackKForV2] // select K=67 for vector=2
_v_lshl_or_b32 v[vgprValuA_X0_I0+5], v[vgprPackTemp], 0x10, v[vgprValuA_X0_I0+5] // pack two half Vgpr to one Vgpr
v_mfma_f32_16x16x32_bf8_fp8 a[4+0:7+0], v[vgprValuB_X0_I0+0+0+0:vgprValuB_X0_I0+0+0+0+1], v[vgprValuA_X0_I0+2+0+0:vgprValuA_X0_I0+2+0+0+1], a[4:7]
/*  mfmaIndex:2  */
_ds_load_b32 v[vgprValuA_X1_I0_D1+0], v[vgprLocalReadAddrA] offset:8704 // L -> Reg lro=8192 swapByteOffset=0 ti=256 vIdx=0 rIdx=1 oIdx=0 buffer=1 iui=0
s_cselect_b32 s80, s[sgprWrapUA+0], s[sgprGlobalReadIncsA+0] // incLower <- ?
/* pack scheduling: packAIdx:18, packBIdx:0 */
v_perm_b32 v[vgprValuA_X0_I0+6], v[vgprValuA_X0_I0_D1+0], v[vgprValuA_X0_I0_D0+0], s[sgprPackKForV3] // select K=01 for vector=3
v_perm_b32 v[vgprPackTemp], v[vgprValuA_X0_I0_D3+0], v[vgprValuA_X0_I0_D2+0], s[sgprPackKForV3] // select K=23 for vector=3
_v_lshl_or_b32 v[vgprValuA_X0_I0+6], v[vgprPackTemp], 0x10, v[vgprValuA_X0_I0+6] // pack two half Vgpr to one Vgpr
v_perm_b32 v[vgprValuA_X0_I0+7], v[vgprValuA_X0_I0_D5+0], v[vgprValuA_X0_I0_D4+0], s[sgprPackKForV3] // select K=45 for vector=3
v_perm_b32 v[vgprPackTemp], v[vgprValuA_X0_I0_D7+0], v[vgprValuA_X0_I0_D6+0], s[sgprPackKForV3] // select K=67 for vector=3
_v_lshl_or_b32 v[vgprValuA_X0_I0+7], v[vgprPackTemp], 0x10, v[vgprValuA_X0_I0+7] // pack two half Vgpr to one Vgpr
v_mfma_f32_16x16x32_bf8_fp8 a[8+0:11+0], v[vgprValuB_X0_I0+0+0+0:vgprValuB_X0_I0+0+0+0+1], v[vgprValuA_X0_I0+4+0+0:vgprValuA_X0_I0+4+0+0+1], a[8:11]
/*  mfmaIndex:3  */
_ds_load_b32 v[vgprValuA_X1_I0_D2+0], v[vgprLocalReadAddrA] offset:8960 // L -> Reg lro=8192 swapByteOffset=0 ti=256 vIdx=0 rIdx=2 oIdx=0 buffer=1 iui=0
s_cselect_b32 s81, s[sgprWrapUA+1], 0              // incUpper <- ?
v_mfma_f32_16x16x32_bf8_fp8 a[12+0:15+0], v[vgprValuB_X0_I0+0+0+0:vgprValuB_X0_I0+0+0+0+1], v[vgprValuA_X0_I0+6+0+0:vgprValuA_X0_I0+6+0+0+1], a[12:15]
/*  mfmaIndex:4  */
_ds_load_b32 v[vgprValuA_X1_I0_D3+0], v[vgprLocalReadAddrA] offset:9216 // L -> Reg lro=8192 swapByteOffset=0 ti=256 vIdx=0 rIdx=3 oIdx=0 buffer=1 iui=0
s_add_u32 s[sgprSrdA+0], s[sgprSrdA+0], s80        // gra SRD += inc(lower)
v_mfma_f32_16x16x32_bf8_fp8 a[28+0:31+0], v[vgprValuB_X0_I0+2+0+0:vgprValuB_X0_I0+2+0+0+1], v[vgprValuA_X0_I0+6+0+0:vgprValuA_X0_I0+6+0+0+1], a[28:31]
/*  mfmaIndex:5  */
_ds_load_b32 v[vgprValuA_X1_I0_D4+0], v[vgprLocalReadAddrA] offset:9472 // L -> Reg lro=8192 swapByteOffset=0 ti=256 vIdx=0 rIdx=4 oIdx=0 buffer=1 iui=0
s_addc_u32  s[sgprSrdA+1], s[sgprSrdA+1], s81      // gra SRD += inc(upper)
v_mfma_f32_16x16x32_bf8_fp8 a[24+0:27+0], v[vgprValuB_X0_I0+2+0+0:vgprValuB_X0_I0+2+0+0+1], v[vgprValuA_X0_I0+4+0+0:vgprValuA_X0_I0+4+0+0+1], a[24:27]
/*  mfmaIndex:6  */
_ds_load_b32 v[vgprValuA_X1_I0_D5+0], v[vgprLocalReadAddrA] offset:9728 // L -> Reg lro=8192 swapByteOffset=0 ti=256 vIdx=0 rIdx=5 oIdx=0 buffer=1 iui=0
s_sub_u32 s[sgprShadowLimitA+0], s[sgprShadowLimitA+0], s80 // limit -= inc)
v_mfma_f32_16x16x32_bf8_fp8 a[20+0:23+0], v[vgprValuB_X0_I0+2+0+0:vgprValuB_X0_I0+2+0+0+1], v[vgprValuA_X0_I0+2+0+0:vgprValuA_X0_I0+2+0+0+1], a[20:23]
/*  mfmaIndex:7  */
_ds_load_b32 v[vgprValuA_X1_I0_D6+0], v[vgprLocalReadAddrA] offset:9984 // L -> Reg lro=8192 swapByteOffset=0 ti=256 vIdx=0 rIdx=6 oIdx=0 buffer=1 iui=0
s_subb_u32 s[sgprShadowLimitA+1], s[sgprShadowLimitA+1], s81 // limit -= inc)
v_mfma_f32_16x16x32_bf8_fp8 a[16+0:19+0], v[vgprValuB_X0_I0+2+0+0:vgprValuB_X0_I0+2+0+0+1], v[vgprValuA_X0_I0+0+0+0:vgprValuA_X0_I0+0+0+0+1], a[16:19]
/*  mfmaIndex:8  */
_ds_load_b32 v[vgprValuA_X1_I0_D7+0], v[vgprLocalReadAddrA] offset:10240 // L -> Reg lro=8192 swapByteOffset=0 ti=256 vIdx=0 rIdx=7 oIdx=0 buffer=1 iui=0
s_cmp_eq_u32 s[sgprShadowLimitA+1], 0              // are we within 2^32?
v_mfma_f32_16x16x32_bf8_fp8 a[32+0:35+0], v[vgprValuB_X0_I0+4+0+0:vgprValuB_X0_I0+4+0+0+1], v[vgprValuA_X0_I0+0+0+0:vgprValuA_X0_I0+0+0+0+1], a[32:35]
/*  mfmaIndex:9  */
_ds_load_b64 v[vgprValuB_X1_I0+0:vgprValuB_X1_I0+0+1], v[vgprLocalReadAddrB] offset:32 // L -> Reg lro=32 swapByteOffset=0 ti=16 vIdx=0 rIdx=0 oIdx=0 buffer=1 iui=0
s_cselect_b32 s[sgprSrdA+2], s[sgprShadowLimitA+0], BufferLimitA // Move shadow to real if we are within 2^32
v_mfma_f32_16x16x32_bf8_fp8 a[36+0:39+0], v[vgprValuB_X0_I0+4+0+0:vgprValuB_X0_I0+4+0+0+1], v[vgprValuA_X0_I0+2+0+0:vgprValuA_X0_I0+2+0+0+1], a[36:39]
/*  mfmaIndex:10  */
_ds_load_b64 v[vgprValuB_X1_I0+2:vgprValuB_X1_I0+2+1], v[vgprLocalReadAddrB] offset:1120 // L -> Reg lro=32 swapByteOffset=0 ti=16 vIdx=1 rIdx=0 oIdx=0 buffer=1 iui=0

/* global read inc B loopL */
s_cmp_eq_u32 s[sgprLoopCounterL], s[sgprStaggerUIter] // Is this the wrapIter?
v_mfma_f32_16x16x32_bf8_fp8 a[40+0:43+0], v[vgprValuB_X0_I0+4+0+0:vgprValuB_X0_I0+4+0+0+1], v[vgprValuA_X0_I0+4+0+0:vgprValuA_X0_I0+4+0+0+1], a[40:43]
/*  mfmaIndex:11  */
_ds_load_b64 v[vgprValuB_X1_I0+4:vgprValuB_X1_I0+4+1], v[vgprLocalReadAddrB] offset:2208 // L -> Reg lro=32 swapByteOffset=0 ti=16 vIdx=2 rIdx=0 oIdx=0 buffer=1 iui=0
s_cselect_b32 s80, s[sgprWrapUB+0], s[sgprGlobalReadIncsB+0] // incLower <- ?
v_mfma_f32_16x16x32_bf8_fp8 a[44+0:47+0], v[vgprValuB_X0_I0+4+0+0:vgprValuB_X0_I0+4+0+0+1], v[vgprValuA_X0_I0+6+0+0:vgprValuA_X0_I0+6+0+0+1], a[44:47]
/*  mfmaIndex:12  */
_ds_load_b64 v[vgprValuB_X1_I0+6:vgprValuB_X1_I0+6+1], v[vgprLocalReadAddrB] offset:3296 // L -> Reg lro=32 swapByteOffset=0 ti=16 vIdx=3 rIdx=0 oIdx=0 buffer=1 iui=0
s_cselect_b32 s81, s[sgprWrapUB+1], 0              // incUpper <- ?
v_mfma_f32_16x16x32_bf8_fp8 a[60+0:63+0], v[vgprValuB_X0_I0+6+0+0:vgprValuB_X0_I0+6+0+0+1], v[vgprValuA_X0_I0+6+0+0:vgprValuA_X0_I0+6+0+0+1], a[60:63]
/*  mfmaIndex:13  */
_ds_load_b64 v[vgprValuB_X1_I0+8:vgprValuB_X1_I0+8+1], v[vgprLocalReadAddrB] offset:4384 // L -> Reg lro=32 swapByteOffset=0 ti=16 vIdx=4 rIdx=0 oIdx=0 buffer=1 iui=0
s_add_u32 s[sgprSrdB+0], s[sgprSrdB+0], s80        // gra SRD += inc(lower)
v_mfma_f32_16x16x32_bf8_fp8 a[56+0:59+0], v[vgprValuB_X0_I0+6+0+0:vgprValuB_X0_I0+6+0+0+1], v[vgprValuA_X0_I0+4+0+0:vgprValuA_X0_I0+4+0+0+1], a[56:59]
/*  mfmaIndex:14  */
_ds_load_b64 v[vgprValuB_X1_I0+10:vgprValuB_X1_I0+10+1], v[vgprLocalReadAddrB] offset:5472 // L -> Reg lro=32 swapByteOffset=0 ti=16 vIdx=5 rIdx=0 oIdx=0 buffer=1 iui=0
s_addc_u32  s[sgprSrdB+1], s[sgprSrdB+1], s81      // gra SRD += inc(upper)
v_mfma_f32_16x16x32_bf8_fp8 a[52+0:55+0], v[vgprValuB_X0_I0+6+0+0:vgprValuB_X0_I0+6+0+0+1], v[vgprValuA_X0_I0+2+0+0:vgprValuA_X0_I0+2+0+0+1], a[52:55]
/*  mfmaIndex:15  */
_ds_load_b64 v[vgprValuB_X1_I0+12:vgprValuB_X1_I0+12+1], v[vgprLocalReadAddrB] offset:6560 // L -> Reg lro=32 swapByteOffset=0 ti=16 vIdx=6 rIdx=0 oIdx=0 buffer=1 iui=0
s_sub_u32 s[sgprShadowLimitB+0], s[sgprShadowLimitB+0], s80 // limit -= inc)
v_mfma_f32_16x16x32_bf8_fp8 a[48+0:51+0], v[vgprValuB_X0_I0+6+0+0:vgprValuB_X0_I0+6+0+0+1], v[vgprValuA_X0_I0+0+0+0:vgprValuA_X0_I0+0+0+0+1], a[48:51]
/*  mfmaIndex:16  */
_ds_load_b64 v[vgprValuB_X1_I0+14:vgprValuB_X1_I0+14+1], v[vgprLocalReadAddrB] offset:7648 // L -> Reg lro=32 swapByteOffset=0 ti=16 vIdx=7 rIdx=0 oIdx=0 buffer=1 iui=0
s_subb_u32 s[sgprShadowLimitB+1], s[sgprShadowLimitB+1], s81 // limit -= inc)
v_mfma_f32_16x16x32_bf8_fp8 a[64+0:67+0], v[vgprValuB_X0_I0+8+0+0:vgprValuB_X0_I0+8+0+0+1], v[vgprValuA_X0_I0+0+0+0:vgprValuA_X0_I0+0+0+0+1], a[64:67]
/*  mfmaIndex:17  */
_ds_load_b64 v[vgprValuB_X1_I0+16:vgprValuB_X1_I0+16+1], v[vgprLocalReadAddrB] offset:8736 // L -> Reg lro=32 swapByteOffset=0 ti=16 vIdx=8 rIdx=0 oIdx=0 buffer=1 iui=0
s_cmp_eq_u32 s[sgprShadowLimitB+1], 0              // are we within 2^32?
v_mfma_f32_16x16x32_bf8_fp8 a[68+0:71+0], v[vgprValuB_X0_I0+8+0+0:vgprValuB_X0_I0+8+0+0+1], v[vgprValuA_X0_I0+2+0+0:vgprValuA_X0_I0+2+0+0+1], a[68:71]
/*  mfmaIndex:18  */
_ds_load_b64 v[vgprValuB_X1_I0+18:vgprValuB_X1_I0+18+1], v[vgprLocalReadAddrB] offset:9824 // L -> Reg lro=32 swapByteOffset=0 ti=16 vIdx=9 rIdx=0 oIdx=0 buffer=1 iui=0
s_cselect_b32 s[sgprSrdB+2], s[sgprShadowLimitB+0], BufferLimitB // Move shadow to real if we are within 2^32
v_mfma_f32_16x16x32_bf8_fp8 a[72+0:75+0], v[vgprValuB_X0_I0+8+0+0:vgprValuB_X0_I0+8+0+0+1], v[vgprValuA_X0_I0+4+0+0:vgprValuA_X0_I0+4+0+0+1], a[72:75]
/*  mfmaIndex:19  */
_ds_load_b64 v[vgprValuB_X1_I0+20:vgprValuB_X1_I0+20+1], v[vgprLocalReadAddrB] offset:10912 // L -> Reg lro=32 swapByteOffset=0 ti=16 vIdx=10 rIdx=0 oIdx=0 buffer=1 iui=0
v_mfma_f32_16x16x32_bf8_fp8 a[76+0:79+0], v[vgprValuB_X0_I0+8+0+0:vgprValuB_X0_I0+8+0+0+1], v[vgprValuA_X0_I0+6+0+0:vgprValuA_X0_I0+6+0+0+1], a[76:79]
/*  mfmaIndex:20  */
_ds_load_b64 v[vgprValuB_X1_I0+22:vgprValuB_X1_I0+22+1], v[vgprLocalReadAddrB] offset:12000 // L -> Reg lro=32 swapByteOffset=0 ti=16 vIdx=11 rIdx=0 oIdx=0 buffer=1 iui=0
	;; [unrolled: 3-line block ×6, first 2 shown]
v_mfma_f32_16x16x32_bf8_fp8 a[96+0:99+0], v[vgprValuB_X0_I0+12+0+0:vgprValuB_X0_I0+12+0+0+1], v[vgprValuA_X0_I0+0+0+0:vgprValuA_X0_I0+0+0+0+1], a[96:99]
/*  mfmaIndex:25  */
/* localReadsVacancy: latencyLeft 2 */
v_mfma_f32_16x16x32_bf8_fp8 a[100+0:103+0], v[vgprValuB_X0_I0+12+0+0:vgprValuB_X0_I0+12+0+0+1], v[vgprValuA_X0_I0+2+0+0:vgprValuA_X0_I0+2+0+0+1], a[100:103]
/*  mfmaIndex:26  */
/* localReadsVacancy: latencyLeft 2 */
v_mfma_f32_16x16x32_bf8_fp8 a[104+0:107+0], v[vgprValuB_X0_I0+12+0+0:vgprValuB_X0_I0+12+0+0+1], v[vgprValuA_X0_I0+4+0+0:vgprValuA_X0_I0+4+0+0+1], a[104:107]
/*  mfmaIndex:27  */
/* localReadsVacancy: latencyLeft 2 */
v_mfma_f32_16x16x32_bf8_fp8 a[108+0:111+0], v[vgprValuB_X0_I0+12+0+0:vgprValuB_X0_I0+12+0+0+1], v[vgprValuA_X0_I0+6+0+0:vgprValuA_X0_I0+6+0+0+1], a[108:111]
/*  mfmaIndex:28  */
/* localReadsVacancy: latencyLeft 2 */
v_mfma_f32_16x16x32_bf8_fp8 a[124+0:127+0], v[vgprValuB_X0_I0+14+0+0:vgprValuB_X0_I0+14+0+0+1], v[vgprValuA_X0_I0+6+0+0:vgprValuA_X0_I0+6+0+0+1], a[124:127]
/*  mfmaIndex:29  */
/* localReadsVacancy: latencyLeft 2 */
v_mfma_f32_16x16x32_bf8_fp8 a[120+0:123+0], v[vgprValuB_X0_I0+14+0+0:vgprValuB_X0_I0+14+0+0+1], v[vgprValuA_X0_I0+4+0+0:vgprValuA_X0_I0+4+0+0+1], a[120:123]
/*  mfmaIndex:30  */
/* localReadsVacancy: latencyLeft 2 */
v_mfma_f32_16x16x32_bf8_fp8 a[116+0:119+0], v[vgprValuB_X0_I0+14+0+0:vgprValuB_X0_I0+14+0+0+1], v[vgprValuA_X0_I0+2+0+0:vgprValuA_X0_I0+2+0+0+1], a[116:119]
/*  mfmaIndex:31  */
/* localReadsVacancy: latencyLeft 2 */
/* 1 LDS buffer: read-sync-write */
s_waitcnt lgkmcnt(0)                               // 
s_barrier                                          // 
v_mfma_f32_16x16x32_bf8_fp8 a[112+0:115+0], v[vgprValuB_X0_I0+14+0+0:vgprValuB_X0_I0+14+0+0+1], v[vgprValuA_X0_I0+0+0+0:vgprValuA_X0_I0+0+0+0+1], a[112:115]
/*  mfmaIndex:32  */
s_setprio 3                                        // store optimization
/* sched write - iter 0 writesPerItem=1 */
s_waitcnt vmcnt(0)                                 // lgkmcnt=-1 vmcnt=0wait for global read before writing to local
_ds_store_b128 v[vgprLocalWriteAddrA], v[vgprG2LA+0:vgprG2LA+0+3] offset:0 // lwoA_0_0_0_0 = (0*LSCA) + (0*LSPA)(*MT0I+PAD) = 0
v_mfma_f32_16x16x32_bf8_fp8 a[128+0:131+0], v[vgprValuB_X0_I0+16+0+0:vgprValuB_X0_I0+16+0+0+1], v[vgprValuA_X0_I0+0+0+0:vgprValuA_X0_I0+0+0+0+1], a[128:131]
/*  mfmaIndex:33  */
v_mfma_f32_16x16x32_bf8_fp8 a[132+0:135+0], v[vgprValuB_X0_I0+16+0+0:vgprValuB_X0_I0+16+0+0+1], v[vgprValuA_X0_I0+2+0+0:vgprValuA_X0_I0+2+0+0+1], a[132:135]
/*  mfmaIndex:34  */
	;; [unrolled: 2-line block ×3, first 2 shown]
/* sched write - iter 0 writesPerItem=1 */
s_waitcnt vmcnt(0)                                 // lgkmcnt=-1 vmcnt=0wait for global read before writing to local
_ds_store_b128 v[vgprLocalWriteAddrA], v[vgprG2LA+4:vgprG2LA+4+3] offset:1024 // lwoA_0_0_1_0 = (0*LSCA) + (1*LSPA)(*MT0I+PAD) = 1024
v_mfma_f32_16x16x32_bf8_fp8 a[140+0:143+0], v[vgprValuB_X0_I0+16+0+0:vgprValuB_X0_I0+16+0+0+1], v[vgprValuA_X0_I0+6+0+0:vgprValuA_X0_I0+6+0+0+1], a[140:143]
/*  mfmaIndex:36  */
v_mfma_f32_16x16x32_bf8_fp8 a[156+0:159+0], v[vgprValuB_X0_I0+18+0+0:vgprValuB_X0_I0+18+0+0+1], v[vgprValuA_X0_I0+6+0+0:vgprValuA_X0_I0+6+0+0+1], a[156:159]
/*  mfmaIndex:37  */
	;; [unrolled: 2-line block ×3, first 2 shown]
/* sched write - iter 0 writesPerItem=1 */
s_waitcnt vmcnt(0)                                 // lgkmcnt=-1 vmcnt=0wait for global read before writing to local
_ds_store_b128 v[vgprLocalWriteAddrA], v[vgprG2LA+8:vgprG2LA+8+3] offset:2112 // lwoA_0_0_2_0 = (0*LSCA) + (2*LSPA)(*MT0I+PAD) = 2112
v_mfma_f32_16x16x32_bf8_fp8 a[148+0:151+0], v[vgprValuB_X0_I0+18+0+0:vgprValuB_X0_I0+18+0+0+1], v[vgprValuA_X0_I0+2+0+0:vgprValuA_X0_I0+2+0+0+1], a[148:151]
/*  mfmaIndex:39  */
v_mfma_f32_16x16x32_bf8_fp8 a[144+0:147+0], v[vgprValuB_X0_I0+18+0+0:vgprValuB_X0_I0+18+0+0+1], v[vgprValuA_X0_I0+0+0+0:vgprValuA_X0_I0+0+0+0+1], a[144:147]
/*  mfmaIndex:40  */
	;; [unrolled: 2-line block ×4, first 2 shown]
/* sched write - iter 0 writesPerItem=1 */
s_waitcnt vmcnt(0)                                 // lgkmcnt=-1 vmcnt=0wait for global read before writing to local
_ds_store_b128 v[vgprLocalWriteAddrA], v[vgprG2LA+12:vgprG2LA+12+3] offset:3136 // lwoA_0_0_3_0 = (0*LSCA) + (3*LSPA)(*MT0I+PAD) = 3136
v_mfma_f32_16x16x32_bf8_fp8 a[168+0:171+0], v[vgprValuB_X0_I0+20+0+0:vgprValuB_X0_I0+20+0+0+1], v[vgprValuA_X0_I0+4+0+0:vgprValuA_X0_I0+4+0+0+1], a[168:171]
/*  mfmaIndex:43  */
v_mfma_f32_16x16x32_bf8_fp8 a[172+0:175+0], v[vgprValuB_X0_I0+20+0+0:vgprValuB_X0_I0+20+0+0+1], v[vgprValuA_X0_I0+6+0+0:vgprValuA_X0_I0+6+0+0+1], a[172:175]
/*  mfmaIndex:44  */
	;; [unrolled: 2-line block ×3, first 2 shown]
/* sched write - iter 0 writesPerItem=1 */
s_waitcnt vmcnt(0)                                 // lgkmcnt=-1 vmcnt=0wait for global read before writing to local
_ds_store_b32 v[vgprLocalWriteAddrB], v[vgprG2LB+0] offset:0 // lwoB_0_0_0_0 = (0*LSCB)*(MT1J+PAD) + (0*LSPB) = 0
v_mfma_f32_16x16x32_bf8_fp8 a[184+0:187+0], v[vgprValuB_X0_I0+22+0+0:vgprValuB_X0_I0+22+0+0+1], v[vgprValuA_X0_I0+4+0+0:vgprValuA_X0_I0+4+0+0+1], a[184:187]
/*  mfmaIndex:46  */
v_mfma_f32_16x16x32_bf8_fp8 a[180+0:183+0], v[vgprValuB_X0_I0+22+0+0:vgprValuB_X0_I0+22+0+0+1], v[vgprValuA_X0_I0+2+0+0:vgprValuA_X0_I0+2+0+0+1], a[180:183]
/*  mfmaIndex:47  */
	;; [unrolled: 2-line block ×3, first 2 shown]
/* sched write - iter 0 writesPerItem=1 */
s_waitcnt vmcnt(0)                                 // lgkmcnt=-1 vmcnt=0wait for global read before writing to local
_ds_store_b32 v[vgprLocalWriteAddrB], v[vgprG2LB+1] offset:1088 // lwoB_0_0_1_0 = (0*LSCB)*(MT1J+PAD) + (1*LSPB) = 1088
v_mfma_f32_16x16x32_bf8_fp8 a[192+0:195+0], v[vgprValuB_X0_I0+24+0+0:vgprValuB_X0_I0+24+0+0+1], v[vgprValuA_X0_I0+0+0+0:vgprValuA_X0_I0+0+0+0+1], a[192:195]
/*  mfmaIndex:49  */
v_mfma_f32_16x16x32_bf8_fp8 a[196+0:199+0], v[vgprValuB_X0_I0+24+0+0:vgprValuB_X0_I0+24+0+0+1], v[vgprValuA_X0_I0+2+0+0:vgprValuA_X0_I0+2+0+0+1], a[196:199]
/*  mfmaIndex:50  */
	;; [unrolled: 2-line block ×4, first 2 shown]
/* sched write - iter 0 writesPerItem=1 */
s_waitcnt vmcnt(0)                                 // lgkmcnt=-1 vmcnt=0wait for global read before writing to local
_ds_store_b32 v[vgprLocalWriteAddrB], v[vgprG2LB+2] offset:2176 // lwoB_0_0_2_0 = (0*LSCB)*(MT1J+PAD) + (2*LSPB) = 2176
v_mfma_f32_16x16x32_bf8_fp8 a[220+0:223+0], v[vgprValuB_X0_I0+26+0+0:vgprValuB_X0_I0+26+0+0+1], v[vgprValuA_X0_I0+6+0+0:vgprValuA_X0_I0+6+0+0+1], a[220:223]
/*  mfmaIndex:53  */
v_mfma_f32_16x16x32_bf8_fp8 a[216+0:219+0], v[vgprValuB_X0_I0+26+0+0:vgprValuB_X0_I0+26+0+0+1], v[vgprValuA_X0_I0+4+0+0:vgprValuA_X0_I0+4+0+0+1], a[216:219]
/*  mfmaIndex:54  */
	;; [unrolled: 2-line block ×3, first 2 shown]
/* sched write - iter 0 writesPerItem=1 */
s_waitcnt vmcnt(0)                                 // lgkmcnt=-1 vmcnt=0wait for global read before writing to local
_ds_store_b32 v[vgprLocalWriteAddrB], v[vgprG2LB+3] offset:3264 // lwoB_0_0_3_0 = (0*LSCB)*(MT1J+PAD) + (3*LSPB) = 3264
v_mfma_f32_16x16x32_bf8_fp8 a[208+0:211+0], v[vgprValuB_X0_I0+26+0+0:vgprValuB_X0_I0+26+0+0+1], v[vgprValuA_X0_I0+0+0+0:vgprValuA_X0_I0+0+0+0+1], a[208:211]
/*  mfmaIndex:56  */
v_mfma_f32_16x16x32_bf8_fp8 a[224+0:227+0], v[vgprValuB_X0_I0+28+0+0:vgprValuB_X0_I0+28+0+0+1], v[vgprValuA_X0_I0+0+0+0:vgprValuA_X0_I0+0+0+0+1], a[224:227]
/*  mfmaIndex:57  */
	;; [unrolled: 2-line block ×3, first 2 shown]
/* sched write - iter 0 writesPerItem=1 */
s_waitcnt vmcnt(0)                                 // lgkmcnt=-1 vmcnt=0wait for global read before writing to local
_ds_store_b32 v[vgprLocalWriteAddrB], v[vgprG2LB+4] offset:4352 // lwoB_0_0_4_0 = (0*LSCB)*(MT1J+PAD) + (4*LSPB) = 4352
v_mfma_f32_16x16x32_bf8_fp8 a[232+0:235+0], v[vgprValuB_X0_I0+28+0+0:vgprValuB_X0_I0+28+0+0+1], v[vgprValuA_X0_I0+4+0+0:vgprValuA_X0_I0+4+0+0+1], a[232:235]
/*  mfmaIndex:59  */
v_mfma_f32_16x16x32_bf8_fp8 a[236+0:239+0], v[vgprValuB_X0_I0+28+0+0:vgprValuB_X0_I0+28+0+0+1], v[vgprValuA_X0_I0+6+0+0:vgprValuA_X0_I0+6+0+0+1], a[236:239]
/*  mfmaIndex:60  */
	;; [unrolled: 2-line block ×4, first 2 shown]
/* sched write - iter 0 writesPerItem=1 */
s_waitcnt vmcnt(0)                                 // lgkmcnt=-1 vmcnt=0wait for global read before writing to local
_ds_store_b32 v[vgprLocalWriteAddrB], v[vgprG2LB+5] offset:5440 // lwoB_0_0_5_0 = (0*LSCB)*(MT1J+PAD) + (5*LSPB) = 5440
v_mfma_f32_16x16x32_bf8_fp8 a[244+0:247+0], v[vgprValuB_X0_I0+30+0+0:vgprValuB_X0_I0+30+0+0+1], v[vgprValuA_X0_I0+2+0+0:vgprValuA_X0_I0+2+0+0+1], a[244:247]
/*  mfmaIndex:63  */

/* local read swap offsets a */

/* local read swap offsets b */

/* local read init pointers a */

/* localReadInitPointers */

/* local read init pointers b */

/* localReadInitPointers */
v_mfma_f32_16x16x32_bf8_fp8 a[240+0:243+0], v[vgprValuB_X0_I0+30+0+0:vgprValuB_X0_I0+30+0+0+1], v[vgprValuA_X0_I0+0+0+0:vgprValuA_X0_I0+0+0+0+1], a[240:243]
/* numPrefetchIter=0 */
/* dataAtIterA=-1 numReadsIterA=1 skipReadsIterA=1 readsPerIterA=8 */
/* dataAtIterB=-1 numReadsIterB=1 skipReadsIterB=1 readsPerIterB=16 */


/* iter 1 (swap and reset local write pointers iteration)  */

/*  grEndMfmaIndex:18, lwStartMfmaIndex:32, lwEndMfmaIndex:96  */
/*  numMfmaForLR:29, barrierMfmaIndex:98, LocalWritePerMfma:0.300 */
/*  mfmaIndex:64  */
/* pack scheduling: packAIdx:6, packBIdx:0 */
v_perm_b32 v[vgprValuA_X1_I0+0], v[vgprValuA_X1_I0_D1+0], v[vgprValuA_X1_I0_D0+0], s[sgprPackKForV0] // select K=01 for vector=0
v_perm_b32 v[vgprPackTemp], v[vgprValuA_X1_I0_D3+0], v[vgprValuA_X1_I0_D2+0], s[sgprPackKForV0] // select K=23 for vector=0
_v_lshl_or_b32 v[vgprValuA_X1_I0+0], v[vgprPackTemp], 0x10, v[vgprValuA_X1_I0+0] // pack two half Vgpr to one Vgpr
v_perm_b32 v[vgprValuA_X1_I0+1], v[vgprValuA_X1_I0_D5+0], v[vgprValuA_X1_I0_D4+0], s[sgprPackKForV0] // select K=45 for vector=0
v_perm_b32 v[vgprPackTemp], v[vgprValuA_X1_I0_D7+0], v[vgprValuA_X1_I0_D6+0], s[sgprPackKForV0] // select K=67 for vector=0
_v_lshl_or_b32 v[vgprValuA_X1_I0+1], v[vgprPackTemp], 0x10, v[vgprValuA_X1_I0+1] // pack two half Vgpr to one Vgpr
v_perm_b32 v[vgprValuA_X1_I0+2], v[vgprValuA_X1_I0_D1+0], v[vgprValuA_X1_I0_D0+0], s[sgprPackKForV1] // select K=01 for vector=1
v_perm_b32 v[vgprPackTemp], v[vgprValuA_X1_I0_D3+0], v[vgprValuA_X1_I0_D2+0], s[sgprPackKForV1] // select K=23 for vector=1
_v_lshl_or_b32 v[vgprValuA_X1_I0+2], v[vgprPackTemp], 0x10, v[vgprValuA_X1_I0+2] // pack two half Vgpr to one Vgpr
v_perm_b32 v[vgprValuA_X1_I0+3], v[vgprValuA_X1_I0_D5+0], v[vgprValuA_X1_I0_D4+0], s[sgprPackKForV1] // select K=45 for vector=1
v_perm_b32 v[vgprPackTemp], v[vgprValuA_X1_I0_D7+0], v[vgprValuA_X1_I0_D6+0], s[sgprPackKForV1] // select K=67 for vector=1
_v_lshl_or_b32 v[vgprValuA_X1_I0+3], v[vgprPackTemp], 0x10, v[vgprValuA_X1_I0+3] // pack two half Vgpr to one Vgpr
v_mfma_f32_16x16x32_bf8_fp8 a[0+0:3+0], v[vgprValuB_X1_I0+0+0+0:vgprValuB_X1_I0+0+0+0+1], v[vgprValuA_X1_I0+0+0+0:vgprValuA_X1_I0+0+0+0+1], a[0:3]
/*  mfmaIndex:65  */
/* sched write - iter 1 writesPerItem=1 */
s_waitcnt vmcnt(0)                                 // lgkmcnt=-1 vmcnt=0wait for global read before writing to local
_ds_store_b32 v[vgprLocalWriteAddrB], v[vgprG2LB+6] offset:6528 // lwoB_0_0_6_0 = (0*LSCB)*(MT1J+PAD) + (6*LSPB) = 6528
/* pack scheduling: packAIdx:12, packBIdx:0 */
v_perm_b32 v[vgprValuA_X1_I0+4], v[vgprValuA_X1_I0_D1+0], v[vgprValuA_X1_I0_D0+0], s[sgprPackKForV2] // select K=01 for vector=2
v_perm_b32 v[vgprPackTemp], v[vgprValuA_X1_I0_D3+0], v[vgprValuA_X1_I0_D2+0], s[sgprPackKForV2] // select K=23 for vector=2
_v_lshl_or_b32 v[vgprValuA_X1_I0+4], v[vgprPackTemp], 0x10, v[vgprValuA_X1_I0+4] // pack two half Vgpr to one Vgpr
v_perm_b32 v[vgprValuA_X1_I0+5], v[vgprValuA_X1_I0_D5+0], v[vgprValuA_X1_I0_D4+0], s[sgprPackKForV2] // select K=45 for vector=2
v_perm_b32 v[vgprPackTemp], v[vgprValuA_X1_I0_D7+0], v[vgprValuA_X1_I0_D6+0], s[sgprPackKForV2] // select K=67 for vector=2
_v_lshl_or_b32 v[vgprValuA_X1_I0+5], v[vgprPackTemp], 0x10, v[vgprValuA_X1_I0+5] // pack two half Vgpr to one Vgpr
v_mfma_f32_16x16x32_bf8_fp8 a[4+0:7+0], v[vgprValuB_X1_I0+0+0+0:vgprValuB_X1_I0+0+0+0+1], v[vgprValuA_X1_I0+2+0+0:vgprValuA_X1_I0+2+0+0+1], a[4:7]
/*  mfmaIndex:66  */
/* pack scheduling: packAIdx:18, packBIdx:0 */
v_perm_b32 v[vgprValuA_X1_I0+6], v[vgprValuA_X1_I0_D1+0], v[vgprValuA_X1_I0_D0+0], s[sgprPackKForV3] // select K=01 for vector=3
v_perm_b32 v[vgprPackTemp], v[vgprValuA_X1_I0_D3+0], v[vgprValuA_X1_I0_D2+0], s[sgprPackKForV3] // select K=23 for vector=3
_v_lshl_or_b32 v[vgprValuA_X1_I0+6], v[vgprPackTemp], 0x10, v[vgprValuA_X1_I0+6] // pack two half Vgpr to one Vgpr
v_perm_b32 v[vgprValuA_X1_I0+7], v[vgprValuA_X1_I0_D5+0], v[vgprValuA_X1_I0_D4+0], s[sgprPackKForV3] // select K=45 for vector=3
v_perm_b32 v[vgprPackTemp], v[vgprValuA_X1_I0_D7+0], v[vgprValuA_X1_I0_D6+0], s[sgprPackKForV3] // select K=67 for vector=3
_v_lshl_or_b32 v[vgprValuA_X1_I0+7], v[vgprPackTemp], 0x10, v[vgprValuA_X1_I0+7] // pack two half Vgpr to one Vgpr
v_mfma_f32_16x16x32_bf8_fp8 a[8+0:11+0], v[vgprValuB_X1_I0+0+0+0:vgprValuB_X1_I0+0+0+0+1], v[vgprValuA_X1_I0+4+0+0:vgprValuA_X1_I0+4+0+0+1], a[8:11]
/*  mfmaIndex:67  */
v_mfma_f32_16x16x32_bf8_fp8 a[12+0:15+0], v[vgprValuB_X1_I0+0+0+0:vgprValuB_X1_I0+0+0+0+1], v[vgprValuA_X1_I0+6+0+0:vgprValuA_X1_I0+6+0+0+1], a[12:15]
/*  mfmaIndex:68  */
/* sched write - iter 1 writesPerItem=1 */
s_waitcnt vmcnt(0)                                 // lgkmcnt=-1 vmcnt=0wait for global read before writing to local
_ds_store_b32 v[vgprLocalWriteAddrB], v[vgprG2LB+7] offset:7616 // lwoB_0_0_7_0 = (0*LSCB)*(MT1J+PAD) + (7*LSPB) = 7616
v_mfma_f32_16x16x32_bf8_fp8 a[28+0:31+0], v[vgprValuB_X1_I0+2+0+0:vgprValuB_X1_I0+2+0+0+1], v[vgprValuA_X1_I0+6+0+0:vgprValuA_X1_I0+6+0+0+1], a[28:31]
/*  mfmaIndex:69  */
v_mfma_f32_16x16x32_bf8_fp8 a[24+0:27+0], v[vgprValuB_X1_I0+2+0+0:vgprValuB_X1_I0+2+0+0+1], v[vgprValuA_X1_I0+4+0+0:vgprValuA_X1_I0+4+0+0+1], a[24:27]
/*  mfmaIndex:70  */
	;; [unrolled: 2-line block ×4, first 2 shown]
/* sched write - iter 1 writesPerItem=1 */
s_waitcnt vmcnt(0)                                 // lgkmcnt=-1 vmcnt=0wait for global read before writing to local
_ds_store_b32 v[vgprLocalWriteAddrB], v[vgprG2LB+8] offset:8704 // lwoB_0_0_8_0 = (0*LSCB)*(MT1J+PAD) + (8*LSPB) = 8704
v_mfma_f32_16x16x32_bf8_fp8 a[32+0:35+0], v[vgprValuB_X1_I0+4+0+0:vgprValuB_X1_I0+4+0+0+1], v[vgprValuA_X1_I0+0+0+0:vgprValuA_X1_I0+0+0+0+1], a[32:35]
/*  mfmaIndex:73  */
v_mfma_f32_16x16x32_bf8_fp8 a[36+0:39+0], v[vgprValuB_X1_I0+4+0+0:vgprValuB_X1_I0+4+0+0+1], v[vgprValuA_X1_I0+2+0+0:vgprValuA_X1_I0+2+0+0+1], a[36:39]
/*  mfmaIndex:74  */
	;; [unrolled: 2-line block ×3, first 2 shown]
/* sched write - iter 1 writesPerItem=1 */
s_waitcnt vmcnt(0)                                 // lgkmcnt=-1 vmcnt=0wait for global read before writing to local
_ds_store_b32 v[vgprLocalWriteAddrB], v[vgprG2LB+9] offset:9792 // lwoB_0_0_9_0 = (0*LSCB)*(MT1J+PAD) + (9*LSPB) = 9792
v_mfma_f32_16x16x32_bf8_fp8 a[44+0:47+0], v[vgprValuB_X1_I0+4+0+0:vgprValuB_X1_I0+4+0+0+1], v[vgprValuA_X1_I0+6+0+0:vgprValuA_X1_I0+6+0+0+1], a[44:47]
/*  mfmaIndex:76  */
v_mfma_f32_16x16x32_bf8_fp8 a[60+0:63+0], v[vgprValuB_X1_I0+6+0+0:vgprValuB_X1_I0+6+0+0+1], v[vgprValuA_X1_I0+6+0+0:vgprValuA_X1_I0+6+0+0+1], a[60:63]
/*  mfmaIndex:77  */
	;; [unrolled: 2-line block ×3, first 2 shown]
/* sched write - iter 1 writesPerItem=1 */
s_waitcnt vmcnt(0)                                 // lgkmcnt=-1 vmcnt=0wait for global read before writing to local
_ds_store_b32 v[vgprLocalWriteAddrB], v[vgprG2LB+10] offset:10880 // lwoB_0_0_10_0 = (0*LSCB)*(MT1J+PAD) + (10*LSPB) = 10880
v_mfma_f32_16x16x32_bf8_fp8 a[52+0:55+0], v[vgprValuB_X1_I0+6+0+0:vgprValuB_X1_I0+6+0+0+1], v[vgprValuA_X1_I0+2+0+0:vgprValuA_X1_I0+2+0+0+1], a[52:55]
/*  mfmaIndex:79  */
v_mfma_f32_16x16x32_bf8_fp8 a[48+0:51+0], v[vgprValuB_X1_I0+6+0+0:vgprValuB_X1_I0+6+0+0+1], v[vgprValuA_X1_I0+0+0+0:vgprValuA_X1_I0+0+0+0+1], a[48:51]
/*  mfmaIndex:80  */
	;; [unrolled: 2-line block ×4, first 2 shown]
/* sched write - iter 1 writesPerItem=1 */
s_waitcnt vmcnt(0)                                 // lgkmcnt=-1 vmcnt=0wait for global read before writing to local
_ds_store_b32 v[vgprLocalWriteAddrB], v[vgprG2LB+11] offset:11968 // lwoB_0_0_11_0 = (0*LSCB)*(MT1J+PAD) + (11*LSPB) = 11968
v_mfma_f32_16x16x32_bf8_fp8 a[72+0:75+0], v[vgprValuB_X1_I0+8+0+0:vgprValuB_X1_I0+8+0+0+1], v[vgprValuA_X1_I0+4+0+0:vgprValuA_X1_I0+4+0+0+1], a[72:75]
/*  mfmaIndex:83  */
v_mfma_f32_16x16x32_bf8_fp8 a[76+0:79+0], v[vgprValuB_X1_I0+8+0+0:vgprValuB_X1_I0+8+0+0+1], v[vgprValuA_X1_I0+6+0+0:vgprValuA_X1_I0+6+0+0+1], a[76:79]
/*  mfmaIndex:84  */
	;; [unrolled: 2-line block ×3, first 2 shown]
/* sched write - iter 1 writesPerItem=1 */
s_waitcnt vmcnt(0)                                 // lgkmcnt=-1 vmcnt=0wait for global read before writing to local
_ds_store_b32 v[vgprLocalWriteAddrB], v[vgprG2LB+12] offset:13056 // lwoB_0_0_12_0 = (0*LSCB)*(MT1J+PAD) + (12*LSPB) = 13056
v_mfma_f32_16x16x32_bf8_fp8 a[88+0:91+0], v[vgprValuB_X1_I0+10+0+0:vgprValuB_X1_I0+10+0+0+1], v[vgprValuA_X1_I0+4+0+0:vgprValuA_X1_I0+4+0+0+1], a[88:91]
/*  mfmaIndex:86  */
v_mfma_f32_16x16x32_bf8_fp8 a[84+0:87+0], v[vgprValuB_X1_I0+10+0+0:vgprValuB_X1_I0+10+0+0+1], v[vgprValuA_X1_I0+2+0+0:vgprValuA_X1_I0+2+0+0+1], a[84:87]
/*  mfmaIndex:87  */
	;; [unrolled: 2-line block ×3, first 2 shown]
/* sched write - iter 1 writesPerItem=1 */
s_waitcnt vmcnt(0)                                 // lgkmcnt=-1 vmcnt=0wait for global read before writing to local
_ds_store_b32 v[vgprLocalWriteAddrB], v[vgprG2LB+13] offset:14144 // lwoB_0_0_13_0 = (0*LSCB)*(MT1J+PAD) + (13*LSPB) = 14144
v_mfma_f32_16x16x32_bf8_fp8 a[96+0:99+0], v[vgprValuB_X1_I0+12+0+0:vgprValuB_X1_I0+12+0+0+1], v[vgprValuA_X1_I0+0+0+0:vgprValuA_X1_I0+0+0+0+1], a[96:99]
/*  mfmaIndex:89  */
v_mfma_f32_16x16x32_bf8_fp8 a[100+0:103+0], v[vgprValuB_X1_I0+12+0+0:vgprValuB_X1_I0+12+0+0+1], v[vgprValuA_X1_I0+2+0+0:vgprValuA_X1_I0+2+0+0+1], a[100:103]
/*  mfmaIndex:90  */
	;; [unrolled: 2-line block ×4, first 2 shown]
/* sched write - iter 1 writesPerItem=1 */
s_waitcnt vmcnt(0)                                 // lgkmcnt=-1 vmcnt=0wait for global read before writing to local
_ds_store_b32 v[vgprLocalWriteAddrB], v[vgprG2LB+14] offset:15232 // lwoB_0_0_14_0 = (0*LSCB)*(MT1J+PAD) + (14*LSPB) = 15232
v_mfma_f32_16x16x32_bf8_fp8 a[124+0:127+0], v[vgprValuB_X1_I0+14+0+0:vgprValuB_X1_I0+14+0+0+1], v[vgprValuA_X1_I0+6+0+0:vgprValuA_X1_I0+6+0+0+1], a[124:127]
/*  mfmaIndex:93  */
v_mfma_f32_16x16x32_bf8_fp8 a[120+0:123+0], v[vgprValuB_X1_I0+14+0+0:vgprValuB_X1_I0+14+0+0+1], v[vgprValuA_X1_I0+4+0+0:vgprValuA_X1_I0+4+0+0+1], a[120:123]
/*  mfmaIndex:94  */
	;; [unrolled: 2-line block ×3, first 2 shown]
/* sched write - iter 1 writesPerItem=1 */
s_waitcnt vmcnt(0)                                 // lgkmcnt=-1 vmcnt=0wait for global read before writing to local
_ds_store_b32 v[vgprLocalWriteAddrB], v[vgprG2LB+15] offset:16320 // lwoB_0_0_15_0 = (0*LSCB)*(MT1J+PAD) + (15*LSPB) = 16320
v_mfma_f32_16x16x32_bf8_fp8 a[112+0:115+0], v[vgprValuB_X1_I0+14+0+0:vgprValuB_X1_I0+14+0+0+1], v[vgprValuA_X1_I0+0+0+0:vgprValuA_X1_I0+0+0+0+1], a[112:115]
/*  mfmaIndex:96  */

/* local write swap offsets a */

/* local write swap offsets b */
v_mfma_f32_16x16x32_bf8_fp8 a[128+0:131+0], v[vgprValuB_X1_I0+16+0+0:vgprValuB_X1_I0+16+0+0+1], v[vgprValuA_X1_I0+0+0+0:vgprValuA_X1_I0+0+0+0+1], a[128:131]
/*  mfmaIndex:97  */
v_mfma_f32_16x16x32_bf8_fp8 a[132+0:135+0], v[vgprValuB_X1_I0+16+0+0:vgprValuB_X1_I0+16+0+0+1], v[vgprValuA_X1_I0+2+0+0:vgprValuA_X1_I0+2+0+0+1], a[132:135]
s_setprio 0                                        // store optimization
/*  mfmaIndex:98  */
s_waitcnt lgkmcnt(0)                               // lgkmcnt=0 vmcnt=-13wait for local write
// Skip force waitcnt0
s_barrier //
v_mfma_f32_16x16x32_bf8_fp8 a[136+0:139+0], v[vgprValuB_X1_I0+16+0+0:vgprValuB_X1_I0+16+0+0+1], v[vgprValuA_X1_I0+4+0+0:vgprValuA_X1_I0+4+0+0+1], a[136:139]
/*  mfmaIndex:99  */
s_setprio 3                                        // store optimization
_ds_load_b32 v[vgprValuA_X0_I0_D0+0], v[vgprLocalReadAddrA] offset:0 // L -> Reg lro=0 swapByteOffset=0 ti=256 vIdx=0 rIdx=0 oIdx=0 buffer=0 iui=0
v_mfma_f32_16x16x32_bf8_fp8 a[140+0:143+0], v[vgprValuB_X1_I0+16+0+0:vgprValuB_X1_I0+16+0+0+1], v[vgprValuA_X1_I0+6+0+0:vgprValuA_X1_I0+6+0+0+1], a[140:143]
/*  mfmaIndex:100  */
_ds_load_b32 v[vgprValuA_X0_I0_D1+0], v[vgprLocalReadAddrA] offset:256 // L -> Reg lro=0 swapByteOffset=0 ti=256 vIdx=0 rIdx=1 oIdx=0 buffer=0 iui=0
v_mfma_f32_16x16x32_bf8_fp8 a[156+0:159+0], v[vgprValuB_X1_I0+18+0+0:vgprValuB_X1_I0+18+0+0+1], v[vgprValuA_X1_I0+6+0+0:vgprValuA_X1_I0+6+0+0+1], a[156:159]
/*  mfmaIndex:101  */
_ds_load_b32 v[vgprValuA_X0_I0_D2+0], v[vgprLocalReadAddrA] offset:512 // L -> Reg lro=0 swapByteOffset=0 ti=256 vIdx=0 rIdx=2 oIdx=0 buffer=0 iui=0
v_mfma_f32_16x16x32_bf8_fp8 a[152+0:155+0], v[vgprValuB_X1_I0+18+0+0:vgprValuB_X1_I0+18+0+0+1], v[vgprValuA_X1_I0+4+0+0:vgprValuA_X1_I0+4+0+0+1], a[152:155]
/*  mfmaIndex:102  */
_ds_load_b32 v[vgprValuA_X0_I0_D3+0], v[vgprLocalReadAddrA] offset:768 // L -> Reg lro=0 swapByteOffset=0 ti=256 vIdx=0 rIdx=3 oIdx=0 buffer=0 iui=0
v_mfma_f32_16x16x32_bf8_fp8 a[148+0:151+0], v[vgprValuB_X1_I0+18+0+0:vgprValuB_X1_I0+18+0+0+1], v[vgprValuA_X1_I0+2+0+0:vgprValuA_X1_I0+2+0+0+1], a[148:151]
/*  mfmaIndex:103  */
_ds_load_b32 v[vgprValuA_X0_I0_D4+0], v[vgprLocalReadAddrA] offset:1024 // L -> Reg lro=0 swapByteOffset=0 ti=256 vIdx=0 rIdx=4 oIdx=0 buffer=0 iui=0
v_mfma_f32_16x16x32_bf8_fp8 a[144+0:147+0], v[vgprValuB_X1_I0+18+0+0:vgprValuB_X1_I0+18+0+0+1], v[vgprValuA_X1_I0+0+0+0:vgprValuA_X1_I0+0+0+0+1], a[144:147]
/*  mfmaIndex:104  */
_ds_load_b32 v[vgprValuA_X0_I0_D5+0], v[vgprLocalReadAddrA] offset:1280 // L -> Reg lro=0 swapByteOffset=0 ti=256 vIdx=0 rIdx=5 oIdx=0 buffer=0 iui=0
v_mfma_f32_16x16x32_bf8_fp8 a[160+0:163+0], v[vgprValuB_X1_I0+20+0+0:vgprValuB_X1_I0+20+0+0+1], v[vgprValuA_X1_I0+0+0+0:vgprValuA_X1_I0+0+0+0+1], a[160:163]
/*  mfmaIndex:105  */
_ds_load_b32 v[vgprValuA_X0_I0_D6+0], v[vgprLocalReadAddrA] offset:1536 // L -> Reg lro=0 swapByteOffset=0 ti=256 vIdx=0 rIdx=6 oIdx=0 buffer=0 iui=0
v_mfma_f32_16x16x32_bf8_fp8 a[164+0:167+0], v[vgprValuB_X1_I0+20+0+0:vgprValuB_X1_I0+20+0+0+1], v[vgprValuA_X1_I0+2+0+0:vgprValuA_X1_I0+2+0+0+1], a[164:167]
/*  mfmaIndex:106  */
_ds_load_b32 v[vgprValuA_X0_I0_D7+0], v[vgprLocalReadAddrA] offset:1792 // L -> Reg lro=0 swapByteOffset=0 ti=256 vIdx=0 rIdx=7 oIdx=0 buffer=0 iui=0
v_mfma_f32_16x16x32_bf8_fp8 a[168+0:171+0], v[vgprValuB_X1_I0+20+0+0:vgprValuB_X1_I0+20+0+0+1], v[vgprValuA_X1_I0+4+0+0:vgprValuA_X1_I0+4+0+0+1], a[168:171]
/*  mfmaIndex:107  */
_ds_load_b64 v[vgprValuB_X0_I0+0:vgprValuB_X0_I0+0+1], v[vgprLocalReadAddrB] offset:0 // L -> Reg lro=0 swapByteOffset=0 ti=16 vIdx=0 rIdx=0 oIdx=0 buffer=0 iui=0
v_mfma_f32_16x16x32_bf8_fp8 a[172+0:175+0], v[vgprValuB_X1_I0+20+0+0:vgprValuB_X1_I0+20+0+0+1], v[vgprValuA_X1_I0+6+0+0:vgprValuA_X1_I0+6+0+0+1], a[172:175]
/*  mfmaIndex:108  */
_ds_load_b64 v[vgprValuB_X0_I0+2:vgprValuB_X0_I0+2+1], v[vgprLocalReadAddrB] offset:1088 // L -> Reg lro=0 swapByteOffset=0 ti=16 vIdx=1 rIdx=0 oIdx=0 buffer=0 iui=0
	;; [unrolled: 3-line block ×16, first 2 shown]
v_mfma_f32_16x16x32_bf8_fp8 a[232+0:235+0], v[vgprValuB_X1_I0+28+0+0:vgprValuB_X1_I0+28+0+0+1], v[vgprValuA_X1_I0+4+0+0:vgprValuA_X1_I0+4+0+0+1], a[232:235]
/*  mfmaIndex:123  */
v_mfma_f32_16x16x32_bf8_fp8 a[236+0:239+0], v[vgprValuB_X1_I0+28+0+0:vgprValuB_X1_I0+28+0+0+1], v[vgprValuA_X1_I0+6+0+0:vgprValuA_X1_I0+6+0+0+1], a[236:239]
/*  mfmaIndex:124  */
	;; [unrolled: 2-line block ×5, first 2 shown]
v_mfma_f32_16x16x32_bf8_fp8 a[240+0:243+0], v[vgprValuB_X1_I0+30+0+0:vgprValuB_X1_I0+30+0+0+1], v[vgprValuA_X1_I0+0+0+0:vgprValuA_X1_I0+0+0+0+1], a[240:243]
s_setprio 0                                        // store optimization

label_0016:


/******************************************/
/* Opt. NoLoadLoop Without PAP - Begin                                      */
/******************************************/

s_cmpk_eq_u32 s[sgprBeta], 0x0                     // Beta == 0
s_cbranch_scc0 OptNLL_End_17                       // Branch if Beta is not zero

s_cmp_eq_u32 s[sgprAlpha], 1.0                     // Alpha == 1.0 ?
s_cbranch_scc0 OptNLL_End_17                       // branch if alpha != 1

s_and_b32 s80, 255, s[sgprSizeI]                   // s80 = s[sgprSizeI] % 256
s_add_u32 s81, -0x1, s[sgprNumWorkGroups0]         // 
s_cmp_ge_u32 s[sgprWorkGroup0], s81                // wg0 >= nwg0-1 ?
s_cselect_b32 s80, s80, 0                          // set rMT0
s_cmpk_gt_u32 s80, 0x0                             // rMT0 > 0
s_cbranch_scc1 OptNLL_End_17                       // jump if edges required
s_and_b32 s80, 255, s[sgprSizeJ]                   // s80 = s[sgprSizeJ] % 256
s_add_u32 s81, -0x1, s[sgprNumWorkGroups1]         // 
s_cmp_ge_u32 s[sgprWorkGroup1], s81                // wg1 >= nwg1-1
s_cselect_b32 s80, s80, 0                          // set rMT1
s_cmpk_gt_u32 s80, 0x0                             // rMT1 > 0
s_cbranch_scc1 OptNLL_End_17                       // jump if edges required


	;; [unrolled: 1-line block ×4, first 2 shown]
/* iter 0 (last unrolled loop) */

/*  grEndMfmaIndex:0, lwStartMfmaIndex:96, lwEndMfmaIndex:96  */
/*  numMfmaForLR:29, barrierMfmaIndex:98, LocalWritePerMfma:0.300 */
/*  mfmaIndex:0  */
s_waitcnt lgkmcnt(0)                               // lgkmcnt=0 vmcnt=-1wait for prior local read local write old=0, new=0 newLW=0 newLR=0
/* pack scheduling: packAIdx:6, packBIdx:0 */
v_perm_b32 v[vgprValuA_X0_I0+0], v[vgprValuA_X0_I0_D1+0], v[vgprValuA_X0_I0_D0+0], s[sgprPackKForV0] // select K=01 for vector=0
v_perm_b32 v[vgprPackTemp], v[vgprValuA_X0_I0_D3+0], v[vgprValuA_X0_I0_D2+0], s[sgprPackKForV0] // select K=23 for vector=0
_v_lshl_or_b32 v[vgprValuA_X0_I0+0], v[vgprPackTemp], 0x10, v[vgprValuA_X0_I0+0] // pack two half Vgpr to one Vgpr
v_perm_b32 v[vgprValuA_X0_I0+1], v[vgprValuA_X0_I0_D5+0], v[vgprValuA_X0_I0_D4+0], s[sgprPackKForV0] // select K=45 for vector=0
v_perm_b32 v[vgprPackTemp], v[vgprValuA_X0_I0_D7+0], v[vgprValuA_X0_I0_D6+0], s[sgprPackKForV0] // select K=67 for vector=0
_v_lshl_or_b32 v[vgprValuA_X0_I0+1], v[vgprPackTemp], 0x10, v[vgprValuA_X0_I0+1] // pack two half Vgpr to one Vgpr
v_perm_b32 v[vgprValuA_X0_I0+2], v[vgprValuA_X0_I0_D1+0], v[vgprValuA_X0_I0_D0+0], s[sgprPackKForV1] // select K=01 for vector=1
v_perm_b32 v[vgprPackTemp], v[vgprValuA_X0_I0_D3+0], v[vgprValuA_X0_I0_D2+0], s[sgprPackKForV1] // select K=23 for vector=1
_v_lshl_or_b32 v[vgprValuA_X0_I0+2], v[vgprPackTemp], 0x10, v[vgprValuA_X0_I0+2] // pack two half Vgpr to one Vgpr
v_perm_b32 v[vgprValuA_X0_I0+3], v[vgprValuA_X0_I0_D5+0], v[vgprValuA_X0_I0_D4+0], s[sgprPackKForV1] // select K=45 for vector=1
v_perm_b32 v[vgprPackTemp], v[vgprValuA_X0_I0_D7+0], v[vgprValuA_X0_I0_D6+0], s[sgprPackKForV1] // select K=67 for vector=1
_v_lshl_or_b32 v[vgprValuA_X0_I0+3], v[vgprPackTemp], 0x10, v[vgprValuA_X0_I0+3] // pack two half Vgpr to one Vgpr
v_mfma_f32_16x16x32_bf8_fp8 a[0+0:3+0], v[vgprValuB_X0_I0+0+0+0:vgprValuB_X0_I0+0+0+0+1], v[vgprValuA_X0_I0+0+0+0:vgprValuA_X0_I0+0+0+0+1], a[0:3]
/*  mfmaIndex:1  */
_ds_load_b32 v[vgprValuA_X1_I0_D0+0], v[vgprLocalReadAddrA] offset:8448 // L -> Reg lro=8192 swapByteOffset=0 ti=256 vIdx=0 rIdx=0 oIdx=0 buffer=1 iui=0
/* pack scheduling: packAIdx:12, packBIdx:0 */
v_perm_b32 v[vgprValuA_X0_I0+4], v[vgprValuA_X0_I0_D1+0], v[vgprValuA_X0_I0_D0+0], s[sgprPackKForV2] // select K=01 for vector=2
v_perm_b32 v[vgprPackTemp], v[vgprValuA_X0_I0_D3+0], v[vgprValuA_X0_I0_D2+0], s[sgprPackKForV2] // select K=23 for vector=2
_v_lshl_or_b32 v[vgprValuA_X0_I0+4], v[vgprPackTemp], 0x10, v[vgprValuA_X0_I0+4] // pack two half Vgpr to one Vgpr
v_perm_b32 v[vgprValuA_X0_I0+5], v[vgprValuA_X0_I0_D5+0], v[vgprValuA_X0_I0_D4+0], s[sgprPackKForV2] // select K=45 for vector=2
v_perm_b32 v[vgprPackTemp], v[vgprValuA_X0_I0_D7+0], v[vgprValuA_X0_I0_D6+0], s[sgprPackKForV2] // select K=67 for vector=2
_v_lshl_or_b32 v[vgprValuA_X0_I0+5], v[vgprPackTemp], 0x10, v[vgprValuA_X0_I0+5] // pack two half Vgpr to one Vgpr
v_mfma_f32_16x16x32_bf8_fp8 a[4+0:7+0], v[vgprValuB_X0_I0+0+0+0:vgprValuB_X0_I0+0+0+0+1], v[vgprValuA_X0_I0+2+0+0:vgprValuA_X0_I0+2+0+0+1], a[4:7]
/*  mfmaIndex:2  */
_ds_load_b32 v[vgprValuA_X1_I0_D1+0], v[vgprLocalReadAddrA] offset:8704 // L -> Reg lro=8192 swapByteOffset=0 ti=256 vIdx=0 rIdx=1 oIdx=0 buffer=1 iui=0
/* pack scheduling: packAIdx:18, packBIdx:0 */
v_perm_b32 v[vgprValuA_X0_I0+6], v[vgprValuA_X0_I0_D1+0], v[vgprValuA_X0_I0_D0+0], s[sgprPackKForV3] // select K=01 for vector=3
v_perm_b32 v[vgprPackTemp], v[vgprValuA_X0_I0_D3+0], v[vgprValuA_X0_I0_D2+0], s[sgprPackKForV3] // select K=23 for vector=3
_v_lshl_or_b32 v[vgprValuA_X0_I0+6], v[vgprPackTemp], 0x10, v[vgprValuA_X0_I0+6] // pack two half Vgpr to one Vgpr
v_perm_b32 v[vgprValuA_X0_I0+7], v[vgprValuA_X0_I0_D5+0], v[vgprValuA_X0_I0_D4+0], s[sgprPackKForV3] // select K=45 for vector=3
v_perm_b32 v[vgprPackTemp], v[vgprValuA_X0_I0_D7+0], v[vgprValuA_X0_I0_D6+0], s[sgprPackKForV3] // select K=67 for vector=3
_v_lshl_or_b32 v[vgprValuA_X0_I0+7], v[vgprPackTemp], 0x10, v[vgprValuA_X0_I0+7] // pack two half Vgpr to one Vgpr
v_mfma_f32_16x16x32_bf8_fp8 a[8+0:11+0], v[vgprValuB_X0_I0+0+0+0:vgprValuB_X0_I0+0+0+0+1], v[vgprValuA_X0_I0+4+0+0:vgprValuA_X0_I0+4+0+0+1], a[8:11]
/*  mfmaIndex:3  */
_ds_load_b32 v[vgprValuA_X1_I0_D2+0], v[vgprLocalReadAddrA] offset:8960 // L -> Reg lro=8192 swapByteOffset=0 ti=256 vIdx=0 rIdx=2 oIdx=0 buffer=1 iui=0
v_mfma_f32_16x16x32_bf8_fp8 a[12+0:15+0], v[vgprValuB_X0_I0+0+0+0:vgprValuB_X0_I0+0+0+0+1], v[vgprValuA_X0_I0+6+0+0:vgprValuA_X0_I0+6+0+0+1], a[12:15]
/*  mfmaIndex:4  */
_ds_load_b32 v[vgprValuA_X1_I0_D3+0], v[vgprLocalReadAddrA] offset:9216 // L -> Reg lro=8192 swapByteOffset=0 ti=256 vIdx=0 rIdx=3 oIdx=0 buffer=1 iui=0
v_mfma_f32_16x16x32_bf8_fp8 a[28+0:31+0], v[vgprValuB_X0_I0+2+0+0:vgprValuB_X0_I0+2+0+0+1], v[vgprValuA_X0_I0+6+0+0:vgprValuA_X0_I0+6+0+0+1], a[28:31]
/*  mfmaIndex:5  */
_ds_load_b32 v[vgprValuA_X1_I0_D4+0], v[vgprLocalReadAddrA] offset:9472 // L -> Reg lro=8192 swapByteOffset=0 ti=256 vIdx=0 rIdx=4 oIdx=0 buffer=1 iui=0
v_mfma_f32_16x16x32_bf8_fp8 a[24+0:27+0], v[vgprValuB_X0_I0+2+0+0:vgprValuB_X0_I0+2+0+0+1], v[vgprValuA_X0_I0+4+0+0:vgprValuA_X0_I0+4+0+0+1], a[24:27]
/*  mfmaIndex:6  */
_ds_load_b32 v[vgprValuA_X1_I0_D5+0], v[vgprLocalReadAddrA] offset:9728 // L -> Reg lro=8192 swapByteOffset=0 ti=256 vIdx=0 rIdx=5 oIdx=0 buffer=1 iui=0
v_mfma_f32_16x16x32_bf8_fp8 a[20+0:23+0], v[vgprValuB_X0_I0+2+0+0:vgprValuB_X0_I0+2+0+0+1], v[vgprValuA_X0_I0+2+0+0:vgprValuA_X0_I0+2+0+0+1], a[20:23]
/*  mfmaIndex:7  */
_ds_load_b32 v[vgprValuA_X1_I0_D6+0], v[vgprLocalReadAddrA] offset:9984 // L -> Reg lro=8192 swapByteOffset=0 ti=256 vIdx=0 rIdx=6 oIdx=0 buffer=1 iui=0
v_mfma_f32_16x16x32_bf8_fp8 a[16+0:19+0], v[vgprValuB_X0_I0+2+0+0:vgprValuB_X0_I0+2+0+0+1], v[vgprValuA_X0_I0+0+0+0:vgprValuA_X0_I0+0+0+0+1], a[16:19]
/*  mfmaIndex:8  */
_ds_load_b32 v[vgprValuA_X1_I0_D7+0], v[vgprLocalReadAddrA] offset:10240 // L -> Reg lro=8192 swapByteOffset=0 ti=256 vIdx=0 rIdx=7 oIdx=0 buffer=1 iui=0
v_mfma_f32_16x16x32_bf8_fp8 a[32+0:35+0], v[vgprValuB_X0_I0+4+0+0:vgprValuB_X0_I0+4+0+0+1], v[vgprValuA_X0_I0+0+0+0:vgprValuA_X0_I0+0+0+0+1], a[32:35]
/*  mfmaIndex:9  */
_ds_load_b64 v[vgprValuB_X1_I0+0:vgprValuB_X1_I0+0+1], v[vgprLocalReadAddrB] offset:32 // L -> Reg lro=32 swapByteOffset=0 ti=16 vIdx=0 rIdx=0 oIdx=0 buffer=1 iui=0
v_mfma_f32_16x16x32_bf8_fp8 a[36+0:39+0], v[vgprValuB_X0_I0+4+0+0:vgprValuB_X0_I0+4+0+0+1], v[vgprValuA_X0_I0+2+0+0:vgprValuA_X0_I0+2+0+0+1], a[36:39]
/*  mfmaIndex:10  */
_ds_load_b64 v[vgprValuB_X1_I0+2:vgprValuB_X1_I0+2+1], v[vgprLocalReadAddrB] offset:1120 // L -> Reg lro=32 swapByteOffset=0 ti=16 vIdx=1 rIdx=0 oIdx=0 buffer=1 iui=0
	;; [unrolled: 3-line block ×16, first 2 shown]
v_mfma_f32_16x16x32_bf8_fp8 a[96+0:99+0], v[vgprValuB_X0_I0+12+0+0:vgprValuB_X0_I0+12+0+0+1], v[vgprValuA_X0_I0+0+0+0:vgprValuA_X0_I0+0+0+0+1], a[96:99]
/*  mfmaIndex:25  */
/* localReadsVacancy: latencyLeft 2 */
v_mfma_f32_16x16x32_bf8_fp8 a[100+0:103+0], v[vgprValuB_X0_I0+12+0+0:vgprValuB_X0_I0+12+0+0+1], v[vgprValuA_X0_I0+2+0+0:vgprValuA_X0_I0+2+0+0+1], a[100:103]
/*  mfmaIndex:26  */
/* localReadsVacancy: latencyLeft 2 */
	;; [unrolled: 3-line block ×39, first 2 shown]
v_mfma_f32_16x16x32_bf8_fp8 a[240+0:243+0], v[vgprValuB_X0_I0+30+0+0:vgprValuB_X0_I0+30+0+0+1], v[vgprValuA_X0_I0+0+0+0:vgprValuA_X0_I0+0+0+0+1], a[240:243]
/* numPrefetchIter=0 */
/* dataAtIterA=-1 numReadsIterA=1 skipReadsIterA=1 readsPerIterA=8 */
/* dataAtIterB=-1 numReadsIterB=1 skipReadsIterB=1 readsPerIterB=16 */


/* iter 1 (last unrolled loop) */

/*  grEndMfmaIndex:0, lwStartMfmaIndex:96, lwEndMfmaIndex:96  */
/*  numMfmaForLR:29, barrierMfmaIndex:98, LocalWritePerMfma:0.300 */
/*  mfmaIndex:64  */
s_waitcnt lgkmcnt(0)                               // lgkmcnt=0 vmcnt=-1wait for prior local read local write old=0, new=0 newLW=0 newLR=0
/* pack scheduling: packAIdx:6, packBIdx:0 */
v_perm_b32 v[vgprValuA_X1_I0+0], v[vgprValuA_X1_I0_D1+0], v[vgprValuA_X1_I0_D0+0], s[sgprPackKForV0] // select K=01 for vector=0
v_perm_b32 v[vgprPackTemp], v[vgprValuA_X1_I0_D3+0], v[vgprValuA_X1_I0_D2+0], s[sgprPackKForV0] // select K=23 for vector=0
_v_lshl_or_b32 v[vgprValuA_X1_I0+0], v[vgprPackTemp], 0x10, v[vgprValuA_X1_I0+0] // pack two half Vgpr to one Vgpr
v_perm_b32 v[vgprValuA_X1_I0+1], v[vgprValuA_X1_I0_D5+0], v[vgprValuA_X1_I0_D4+0], s[sgprPackKForV0] // select K=45 for vector=0
v_perm_b32 v[vgprPackTemp], v[vgprValuA_X1_I0_D7+0], v[vgprValuA_X1_I0_D6+0], s[sgprPackKForV0] // select K=67 for vector=0
_v_lshl_or_b32 v[vgprValuA_X1_I0+1], v[vgprPackTemp], 0x10, v[vgprValuA_X1_I0+1] // pack two half Vgpr to one Vgpr
v_perm_b32 v[vgprValuA_X1_I0+2], v[vgprValuA_X1_I0_D1+0], v[vgprValuA_X1_I0_D0+0], s[sgprPackKForV1] // select K=01 for vector=1
v_perm_b32 v[vgprPackTemp], v[vgprValuA_X1_I0_D3+0], v[vgprValuA_X1_I0_D2+0], s[sgprPackKForV1] // select K=23 for vector=1
_v_lshl_or_b32 v[vgprValuA_X1_I0+2], v[vgprPackTemp], 0x10, v[vgprValuA_X1_I0+2] // pack two half Vgpr to one Vgpr
v_perm_b32 v[vgprValuA_X1_I0+3], v[vgprValuA_X1_I0_D5+0], v[vgprValuA_X1_I0_D4+0], s[sgprPackKForV1] // select K=45 for vector=1
v_perm_b32 v[vgprPackTemp], v[vgprValuA_X1_I0_D7+0], v[vgprValuA_X1_I0_D6+0], s[sgprPackKForV1] // select K=67 for vector=1
_v_lshl_or_b32 v[vgprValuA_X1_I0+3], v[vgprPackTemp], 0x10, v[vgprValuA_X1_I0+3] // pack two half Vgpr to one Vgpr
v_mfma_f32_16x16x32_bf8_fp8 a[0+0:3+0], v[vgprValuB_X1_I0+0+0+0:vgprValuB_X1_I0+0+0+0+1], v[vgprValuA_X1_I0+0+0+0:vgprValuA_X1_I0+0+0+0+1], a[0:3]
/*  mfmaIndex:65  */
/* pack scheduling: packAIdx:12, packBIdx:0 */
v_perm_b32 v[vgprValuA_X1_I0+4], v[vgprValuA_X1_I0_D1+0], v[vgprValuA_X1_I0_D0+0], s[sgprPackKForV2] // select K=01 for vector=2
v_perm_b32 v[vgprPackTemp], v[vgprValuA_X1_I0_D3+0], v[vgprValuA_X1_I0_D2+0], s[sgprPackKForV2] // select K=23 for vector=2
_v_lshl_or_b32 v[vgprValuA_X1_I0+4], v[vgprPackTemp], 0x10, v[vgprValuA_X1_I0+4] // pack two half Vgpr to one Vgpr
v_perm_b32 v[vgprValuA_X1_I0+5], v[vgprValuA_X1_I0_D5+0], v[vgprValuA_X1_I0_D4+0], s[sgprPackKForV2] // select K=45 for vector=2
v_perm_b32 v[vgprPackTemp], v[vgprValuA_X1_I0_D7+0], v[vgprValuA_X1_I0_D6+0], s[sgprPackKForV2] // select K=67 for vector=2
_v_lshl_or_b32 v[vgprValuA_X1_I0+5], v[vgprPackTemp], 0x10, v[vgprValuA_X1_I0+5] // pack two half Vgpr to one Vgpr
v_mfma_f32_16x16x32_bf8_fp8 a[4+0:7+0], v[vgprValuB_X1_I0+0+0+0:vgprValuB_X1_I0+0+0+0+1], v[vgprValuA_X1_I0+2+0+0:vgprValuA_X1_I0+2+0+0+1], a[4:7]
/*  mfmaIndex:66  */
/* pack scheduling: packAIdx:18, packBIdx:0 */
v_perm_b32 v[vgprValuA_X1_I0+6], v[vgprValuA_X1_I0_D1+0], v[vgprValuA_X1_I0_D0+0], s[sgprPackKForV3] // select K=01 for vector=3
v_perm_b32 v[vgprPackTemp], v[vgprValuA_X1_I0_D3+0], v[vgprValuA_X1_I0_D2+0], s[sgprPackKForV3] // select K=23 for vector=3
_v_lshl_or_b32 v[vgprValuA_X1_I0+6], v[vgprPackTemp], 0x10, v[vgprValuA_X1_I0+6] // pack two half Vgpr to one Vgpr
v_perm_b32 v[vgprValuA_X1_I0+7], v[vgprValuA_X1_I0_D5+0], v[vgprValuA_X1_I0_D4+0], s[sgprPackKForV3] // select K=45 for vector=3
v_perm_b32 v[vgprPackTemp], v[vgprValuA_X1_I0_D7+0], v[vgprValuA_X1_I0_D6+0], s[sgprPackKForV3] // select K=67 for vector=3
_v_lshl_or_b32 v[vgprValuA_X1_I0+7], v[vgprPackTemp], 0x10, v[vgprValuA_X1_I0+7] // pack two half Vgpr to one Vgpr
v_mfma_f32_16x16x32_bf8_fp8 a[8+0:11+0], v[vgprValuB_X1_I0+0+0+0:vgprValuB_X1_I0+0+0+0+1], v[vgprValuA_X1_I0+4+0+0:vgprValuA_X1_I0+4+0+0+1], a[8:11]
/*  mfmaIndex:67  */
v_mfma_f32_16x16x32_bf8_fp8 a[12+0:15+0], v[vgprValuB_X1_I0+0+0+0:vgprValuB_X1_I0+0+0+0+1], v[vgprValuA_X1_I0+6+0+0:vgprValuA_X1_I0+6+0+0+1], a[12:15]
/*  mfmaIndex:68  */
	;; [unrolled: 2-line block ×29, first 2 shown]
/* 1 LDS buffer: read-sync-write */
s_waitcnt lgkmcnt(0)                               // 
s_barrier                                          // 
v_mfma_f32_16x16x32_bf8_fp8 a[112+0:115+0], v[vgprValuB_X1_I0+14+0+0:vgprValuB_X1_I0+14+0+0+1], v[vgprValuA_X1_I0+0+0+0:vgprValuA_X1_I0+0+0+0+1], a[112:115]
/*  mfmaIndex:96  */
s_setprio 3                                        // store optimization
v_mfma_f32_16x16x32_bf8_fp8 a[128+0:131+0], v[vgprValuB_X1_I0+16+0+0:vgprValuB_X1_I0+16+0+0+1], v[vgprValuA_X1_I0+0+0+0:vgprValuA_X1_I0+0+0+0+1], a[128:131]
/*  mfmaIndex:97  */
v_mfma_f32_16x16x32_bf8_fp8 a[132+0:135+0], v[vgprValuB_X1_I0+16+0+0:vgprValuB_X1_I0+16+0+0+1], v[vgprValuA_X1_I0+2+0+0:vgprValuA_X1_I0+2+0+0+1], a[132:135]
s_setprio 0                                        // store optimization
/*  mfmaIndex:98  */
v_mfma_f32_16x16x32_bf8_fp8 a[136+0:139+0], v[vgprValuB_X1_I0+16+0+0:vgprValuB_X1_I0+16+0+0+1], v[vgprValuA_X1_I0+4+0+0:vgprValuA_X1_I0+4+0+0+1], a[136:139]
/*  mfmaIndex:99  */
s_setprio 3                                        // store optimization
v_mfma_f32_16x16x32_bf8_fp8 a[140+0:143+0], v[vgprValuB_X1_I0+16+0+0:vgprValuB_X1_I0+16+0+0+1], v[vgprValuA_X1_I0+6+0+0:vgprValuA_X1_I0+6+0+0+1], a[140:143]
/*  mfmaIndex:100  */
v_mfma_f32_16x16x32_bf8_fp8 a[156+0:159+0], v[vgprValuB_X1_I0+18+0+0:vgprValuB_X1_I0+18+0+0+1], v[vgprValuA_X1_I0+6+0+0:vgprValuA_X1_I0+6+0+0+1], a[156:159]
/*  mfmaIndex:101  */
	;; [unrolled: 2-line block ×28, first 2 shown]
v_mfma_f32_16x16x32_bf8_fp8 a[240+0:243+0], v[vgprValuB_X1_I0+30+0+0:vgprValuB_X1_I0+30+0+0+1], v[vgprValuA_X1_I0+0+0+0:vgprValuA_X1_I0+0+0+0+1], a[240:243]
/* numPrefetchIter=0 */
/* dataAtIterA=0 numReadsIterA=1 skipReadsIterA=0 readsPerIterA=8 */
/* dataAtIterB=0 numReadsIterB=1 skipReadsIterB=0 readsPerIterB=16 */

/* Stores for OptNLL */
Summation_End_OptNLL_18:
s_setprio 0                                        // optimization store
/* endSummation: add vgpr [0...124) to pool */
.set NumFullBlocks, UNDEF
.set WgmRemainder1, UNDEF
.set MagicNumberWgmRemainder1, UNDEF
.set PackKForV0, UNDEF
.set PackKForV1, UNDEF
.set PackKForV2, UNDEF
.set PackKForV3, UNDEF
.set ScalarGlobalReadOffsetA, UNDEF
.set ScalarGlobalReadOffsetB, UNDEF

/* Mapping of Acc register -> C Vgpr register */
/* computeStoreVgprs */
v_lshrrev_b32 v4, 6, v[vgprSerial]                 // v4 = v[vgprSerial] / 64
v_and_b32 v1, 63, v[vgprSerial]                    // v1 = v[vgprSerial] % 64
v_lshrrev_b32 v1, 4, v1                            // v1 = v1 / 16
v_lshlrev_b32 v1, 0x2, v1                          // thread0 * continuous_output
v_lshrrev_b32 v5, 2, v4                            // v5 = v4 / 4
v_mul_lo_u32 v5, 0x10, v5                          // wave coordination offset 1
_v_add_lshl_u32 v1, v5, v1, 0                      // coordination 1 = vwb *(wave_id1 + tid1)
v_mul_lo_u32 v2, v1, s[sgprStrideC1J]              //  offset 1
v_mul_lo_u32 v3, v1, s[sgprStrideD1J]              //  offset 1
v_and_b32 v5, 3, v4                                // v5 = v4 % 4
v_mul_lo_u32 v5, 0x10, v5                          // wave coordination offset 0
v_and_b32 v0, 15, v[vgprSerial]                    // v0 = v[vgprSerial] % 16
_v_add_lshl_u32 v0, v5, v0, 2                      // coordination 0 = vwa *(wave_id0 + tid0)
s_mul_i32 s53, 256, s[sgprWorkGroup0]              // wgp0 * MT0
_v_add_u32 v0, s53, v0                             // coord 0 = (tid0/MI_m)*4 + waveG0*MIB_m + MT0*SG0
s_mul_i32 s53, 256, s[sgprWorkGroup1]              // wgp1 * MT1
_v_add_u32 v1, s53, v1                             // coord 1 = (tid0%MI_m) + waveG1*MIB_n + MT1*SG1
GW_B0_E0_21:

/* edge=0, allocate 2 sgpr. perBatchTmpS=2 perBatchMaskS=0 perElementMaskS=0 elementsPerBatch=59 */
/* optSingleColVgpr=1 optSharedColVgpr=0 optSGPRUsage=BufferLoad_Mask optSrdIncForRow=1 */
s_sleep 3 // optimization: sync and wait
s_barrier

/******************************************/
/* Global Write Batch #0 (d1,d0,vc1,vc0) = */
/*    (0,0,0,0:vw4); (0,0,1,0:vw4); (0,0,2,0:vw4); (0,0,3,0:vw4); (1,0,0,0:vw4); (1,0,1,0:vw4); (1,0,2,0:vw4); (1,0,3,0:vw4); (2,0,0,0:vw4); (2,0,1,0:vw4); (2,0,2,0:vw4); (2,0,3,0:vw4); (3,0,0,0:vw4); (3,0,1,0:vw4); (3,0,2,0:vw4); (3,0,3,0:vw4); (4,0,0,0:vw4); (4,0,1,0:vw4); (4,0,2,0:vw4); (4,0,3,0:vw4); (5,0,0,0:vw4); (5,0,1,0:vw4); (5,0,2,0:vw4); (5,0,3,0:vw4); (6,0,0,0:vw4); (6,0,1,0:vw4); (6,0,2,0:vw4); (6,0,3,0:vw4); (7,0,0,0:vw4); (7,0,1,0:vw4); (7,0,2,0:vw4); (7,0,3,0:vw4); (8,0,0,0:vw4); (8,0,1,0:vw4); (8,0,2,0:vw4); (8,0,3,0:vw4); (9,0,0,0:vw4); (9,0,1,0:vw4); (9,0,2,0:vw4); (9,0,3,0:vw4); (10,0,0,0:vw4); (10,0,1,0:vw4); (10,0,2,0:vw4); (10,0,3,0:vw4); (11,0,0,0:vw4); (11,0,1,0:vw4); (11,0,2,0:vw4); (11,0,3,0:vw4); (12,0,0,0:vw4); (12,0,1,0:vw4); (12,0,2,0:vw4); (12,0,3,0:vw4); (13,0,0,0:vw4); (13,0,1,0:vw4); (13,0,2,0:vw4); (13,0,3,0:vw4); (14,0,0,0:vw4); (14,0,1,0:vw4); (14,0,2,0:vw4) */
/******************************************/

/* calc coords, apply mask, and issue loads (if necessary) */
/* (d1,vc1,d0,vc0)=(0,0,0,0) */
/* (d1,vc1,d0,vc0)=(0,1,0,0) */
/* (d1,vc1,d0,vc0)=(0,2,0,0) */
/* (d1,vc1,d0,vc0)=(0,3,0,0) */
/* (d1,vc1,d0,vc0)=(1,0,0,0) */
/* (d1,vc1,d0,vc0)=(1,1,0,0) */
/* (d1,vc1,d0,vc0)=(1,2,0,0) */
/* (d1,vc1,d0,vc0)=(1,3,0,0) */
/* (d1,vc1,d0,vc0)=(2,0,0,0) */
/* (d1,vc1,d0,vc0)=(2,1,0,0) */
/* (d1,vc1,d0,vc0)=(2,2,0,0) */
/* (d1,vc1,d0,vc0)=(2,3,0,0) */
/* (d1,vc1,d0,vc0)=(3,0,0,0) */
/* (d1,vc1,d0,vc0)=(3,1,0,0) */
/* (d1,vc1,d0,vc0)=(3,2,0,0) */
/* (d1,vc1,d0,vc0)=(3,3,0,0) */
/* (d1,vc1,d0,vc0)=(4,0,0,0) */
/* (d1,vc1,d0,vc0)=(4,1,0,0) */
/* (d1,vc1,d0,vc0)=(4,2,0,0) */
/* (d1,vc1,d0,vc0)=(4,3,0,0) */
/* (d1,vc1,d0,vc0)=(5,0,0,0) */
/* (d1,vc1,d0,vc0)=(5,1,0,0) */
/* (d1,vc1,d0,vc0)=(5,2,0,0) */
/* (d1,vc1,d0,vc0)=(5,3,0,0) */
/* (d1,vc1,d0,vc0)=(6,0,0,0) */
/* (d1,vc1,d0,vc0)=(6,1,0,0) */
/* (d1,vc1,d0,vc0)=(6,2,0,0) */
/* (d1,vc1,d0,vc0)=(6,3,0,0) */
/* (d1,vc1,d0,vc0)=(7,0,0,0) */
/* (d1,vc1,d0,vc0)=(7,1,0,0) */
/* (d1,vc1,d0,vc0)=(7,2,0,0) */
/* (d1,vc1,d0,vc0)=(7,3,0,0) */
/* (d1,vc1,d0,vc0)=(8,0,0,0) */
/* (d1,vc1,d0,vc0)=(8,1,0,0) */
/* (d1,vc1,d0,vc0)=(8,2,0,0) */
/* (d1,vc1,d0,vc0)=(8,3,0,0) */
/* (d1,vc1,d0,vc0)=(9,0,0,0) */
/* (d1,vc1,d0,vc0)=(9,1,0,0) */
/* (d1,vc1,d0,vc0)=(9,2,0,0) */
/* (d1,vc1,d0,vc0)=(9,3,0,0) */
/* (d1,vc1,d0,vc0)=(10,0,0,0) */
/* (d1,vc1,d0,vc0)=(10,1,0,0) */
/* (d1,vc1,d0,vc0)=(10,2,0,0) */
/* (d1,vc1,d0,vc0)=(10,3,0,0) */
/* (d1,vc1,d0,vc0)=(11,0,0,0) */
/* (d1,vc1,d0,vc0)=(11,1,0,0) */
/* (d1,vc1,d0,vc0)=(11,2,0,0) */
/* (d1,vc1,d0,vc0)=(11,3,0,0) */
/* (d1,vc1,d0,vc0)=(12,0,0,0) */
/* (d1,vc1,d0,vc0)=(12,1,0,0) */
/* (d1,vc1,d0,vc0)=(12,2,0,0) */
/* (d1,vc1,d0,vc0)=(12,3,0,0) */
/* (d1,vc1,d0,vc0)=(13,0,0,0) */
/* (d1,vc1,d0,vc0)=(13,1,0,0) */
/* (d1,vc1,d0,vc0)=(13,2,0,0) */
/* (d1,vc1,d0,vc0)=(13,3,0,0) */
/* (d1,vc1,d0,vc0)=(14,0,0,0) */
/* (d1,vc1,d0,vc0)=(14,1,0,0) */
/* (d1,vc1,d0,vc0)=(14,2,0,0) */
_v_add_lshl_u32 v11, v3, v0, 0x0                   // optSingleColVgpr scaleToBpe: sharedAddrVgpr <- cinRowPtr + coord0, scaled by BPE. BSHERE:coord0=0, coord0Vgpr=0
v_accvgpr_read_b32 v[vgprValuC+16], acc0 // copy acc to vreg[0]
v_accvgpr_read_b32 v[vgprValuC+17], acc4 // copy acc to vreg[1]
v_accvgpr_read_b32 v[vgprValuC+18], acc8 // copy acc to vreg[2]
v_accvgpr_read_b32 v[vgprValuC+19], acc12 // copy acc to vreg[3]
v_accvgpr_read_b32 v[vgprValuC+20], acc1 // copy acc to vreg[4]
v_accvgpr_read_b32 v[vgprValuC+21], acc5 // copy acc to vreg[5]
v_accvgpr_read_b32 v[vgprValuC+22], acc9 // copy acc to vreg[6]
v_accvgpr_read_b32 v[vgprValuC+23], acc13 // copy acc to vreg[7]
v_accvgpr_read_b32 v[vgprValuC+24], acc2 // copy acc to vreg[8]
v_accvgpr_read_b32 v[vgprValuC+25], acc6 // copy acc to vreg[9]
v_accvgpr_read_b32 v[vgprValuC+26], acc10 // copy acc to vreg[10]
v_accvgpr_read_b32 v[vgprValuC+27], acc14 // copy acc to vreg[11]
v_accvgpr_read_b32 v[vgprValuC+28], acc3 // copy acc to vreg[12]
v_accvgpr_read_b32 v[vgprValuC+29], acc7 // copy acc to vreg[13]
v_accvgpr_read_b32 v[vgprValuC+30], acc11 // copy acc to vreg[14]
v_accvgpr_read_b32 v[vgprValuC+31], acc15 // copy acc to vreg[15]
v_accvgpr_read_b32 v[vgprValuC+32], acc16 // copy acc to vreg[16]
v_accvgpr_read_b32 v[vgprValuC+33], acc20 // copy acc to vreg[17]
v_accvgpr_read_b32 v[vgprValuC+34], acc24 // copy acc to vreg[18]
v_accvgpr_read_b32 v[vgprValuC+35], acc28 // copy acc to vreg[19]
v_accvgpr_read_b32 v[vgprValuC+36], acc17 // copy acc to vreg[20]
v_accvgpr_read_b32 v[vgprValuC+37], acc21 // copy acc to vreg[21]
v_accvgpr_read_b32 v[vgprValuC+38], acc25 // copy acc to vreg[22]
v_accvgpr_read_b32 v[vgprValuC+39], acc29 // copy acc to vreg[23]
v_accvgpr_read_b32 v[vgprValuC+40], acc18 // copy acc to vreg[24]
v_accvgpr_read_b32 v[vgprValuC+41], acc22 // copy acc to vreg[25]
v_accvgpr_read_b32 v[vgprValuC+42], acc26 // copy acc to vreg[26]
v_accvgpr_read_b32 v[vgprValuC+43], acc30 // copy acc to vreg[27]
v_accvgpr_read_b32 v[vgprValuC+44], acc19 // copy acc to vreg[28]
v_accvgpr_read_b32 v[vgprValuC+45], acc23 // copy acc to vreg[29]
v_accvgpr_read_b32 v[vgprValuC+46], acc27 // copy acc to vreg[30]
v_accvgpr_read_b32 v[vgprValuC+47], acc31 // copy acc to vreg[31]
v_accvgpr_read_b32 v[vgprValuC+48], acc32 // copy acc to vreg[32]
v_accvgpr_read_b32 v[vgprValuC+49], acc36 // copy acc to vreg[33]
v_accvgpr_read_b32 v[vgprValuC+50], acc40 // copy acc to vreg[34]
v_accvgpr_read_b32 v[vgprValuC+51], acc44 // copy acc to vreg[35]
v_accvgpr_read_b32 v[vgprValuC+52], acc33 // copy acc to vreg[36]
v_accvgpr_read_b32 v[vgprValuC+53], acc37 // copy acc to vreg[37]
v_accvgpr_read_b32 v[vgprValuC+54], acc41 // copy acc to vreg[38]
v_accvgpr_read_b32 v[vgprValuC+55], acc45 // copy acc to vreg[39]
v_accvgpr_read_b32 v[vgprValuC+56], acc34 // copy acc to vreg[40]
v_accvgpr_read_b32 v[vgprValuC+57], acc38 // copy acc to vreg[41]
v_accvgpr_read_b32 v[vgprValuC+58], acc42 // copy acc to vreg[42]
v_accvgpr_read_b32 v[vgprValuC+59], acc46 // copy acc to vreg[43]
v_accvgpr_read_b32 v[vgprValuC+60], acc35 // copy acc to vreg[44]
v_accvgpr_read_b32 v[vgprValuC+61], acc39 // copy acc to vreg[45]
v_accvgpr_read_b32 v[vgprValuC+62], acc43 // copy acc to vreg[46]
v_accvgpr_read_b32 v[vgprValuC+63], acc47 // copy acc to vreg[47]
v_accvgpr_read_b32 v[vgprValuC+64], acc48 // copy acc to vreg[48]
v_accvgpr_read_b32 v[vgprValuC+65], acc52 // copy acc to vreg[49]
v_accvgpr_read_b32 v[vgprValuC+66], acc56 // copy acc to vreg[50]
v_accvgpr_read_b32 v[vgprValuC+67], acc60 // copy acc to vreg[51]
v_accvgpr_read_b32 v[vgprValuC+68], acc49 // copy acc to vreg[52]
v_accvgpr_read_b32 v[vgprValuC+69], acc53 // copy acc to vreg[53]
v_accvgpr_read_b32 v[vgprValuC+70], acc57 // copy acc to vreg[54]
v_accvgpr_read_b32 v[vgprValuC+71], acc61 // copy acc to vreg[55]
v_accvgpr_read_b32 v[vgprValuC+72], acc50 // copy acc to vreg[56]
v_accvgpr_read_b32 v[vgprValuC+73], acc54 // copy acc to vreg[57]
v_accvgpr_read_b32 v[vgprValuC+74], acc58 // copy acc to vreg[58]
v_accvgpr_read_b32 v[vgprValuC+75], acc62 // copy acc to vreg[59]
v_accvgpr_read_b32 v[vgprValuC+76], acc51 // copy acc to vreg[60]
v_accvgpr_read_b32 v[vgprValuC+77], acc55 // copy acc to vreg[61]
v_accvgpr_read_b32 v[vgprValuC+78], acc59 // copy acc to vreg[62]
v_accvgpr_read_b32 v[vgprValuC+79], acc63 // copy acc to vreg[63]
v_accvgpr_read_b32 v[vgprValuC+80], acc64 // copy acc to vreg[64]
v_accvgpr_read_b32 v[vgprValuC+81], acc68 // copy acc to vreg[65]
v_accvgpr_read_b32 v[vgprValuC+82], acc72 // copy acc to vreg[66]
v_accvgpr_read_b32 v[vgprValuC+83], acc76 // copy acc to vreg[67]
v_accvgpr_read_b32 v[vgprValuC+84], acc65 // copy acc to vreg[68]
v_accvgpr_read_b32 v[vgprValuC+85], acc69 // copy acc to vreg[69]
v_accvgpr_read_b32 v[vgprValuC+86], acc73 // copy acc to vreg[70]
v_accvgpr_read_b32 v[vgprValuC+87], acc77 // copy acc to vreg[71]
v_accvgpr_read_b32 v[vgprValuC+88], acc66 // copy acc to vreg[72]
v_accvgpr_read_b32 v[vgprValuC+89], acc70 // copy acc to vreg[73]
v_accvgpr_read_b32 v[vgprValuC+90], acc74 // copy acc to vreg[74]
v_accvgpr_read_b32 v[vgprValuC+91], acc78 // copy acc to vreg[75]
v_accvgpr_read_b32 v[vgprValuC+92], acc67 // copy acc to vreg[76]
v_accvgpr_read_b32 v[vgprValuC+93], acc71 // copy acc to vreg[77]
v_accvgpr_read_b32 v[vgprValuC+94], acc75 // copy acc to vreg[78]
v_accvgpr_read_b32 v[vgprValuC+95], acc79 // copy acc to vreg[79]
v_accvgpr_read_b32 v[vgprValuC+96], acc80 // copy acc to vreg[80]
v_accvgpr_read_b32 v[vgprValuC+97], acc84 // copy acc to vreg[81]
v_accvgpr_read_b32 v[vgprValuC+98], acc88 // copy acc to vreg[82]
v_accvgpr_read_b32 v[vgprValuC+99], acc92 // copy acc to vreg[83]
v_accvgpr_read_b32 v[vgprValuC+100], acc81 // copy acc to vreg[84]
v_accvgpr_read_b32 v[vgprValuC+101], acc85 // copy acc to vreg[85]
v_accvgpr_read_b32 v[vgprValuC+102], acc89 // copy acc to vreg[86]
v_accvgpr_read_b32 v[vgprValuC+103], acc93 // copy acc to vreg[87]
v_accvgpr_read_b32 v[vgprValuC+104], acc82 // copy acc to vreg[88]
v_accvgpr_read_b32 v[vgprValuC+105], acc86 // copy acc to vreg[89]
v_accvgpr_read_b32 v[vgprValuC+106], acc90 // copy acc to vreg[90]
v_accvgpr_read_b32 v[vgprValuC+107], acc94 // copy acc to vreg[91]
v_accvgpr_read_b32 v[vgprValuC+108], acc83 // copy acc to vreg[92]
v_accvgpr_read_b32 v[vgprValuC+109], acc87 // copy acc to vreg[93]
v_accvgpr_read_b32 v[vgprValuC+110], acc91 // copy acc to vreg[94]
v_accvgpr_read_b32 v[vgprValuC+111], acc95 // copy acc to vreg[95]
v_accvgpr_read_b32 v[vgprValuC+112], acc96 // copy acc to vreg[96]
v_accvgpr_read_b32 v[vgprValuC+113], acc100 // copy acc to vreg[97]
v_accvgpr_read_b32 v[vgprValuC+114], acc104 // copy acc to vreg[98]
v_accvgpr_read_b32 v[vgprValuC+115], acc108 // copy acc to vreg[99]
v_accvgpr_read_b32 v[vgprValuC+116], acc97 // copy acc to vreg[100]
v_accvgpr_read_b32 v[vgprValuC+117], acc101 // copy acc to vreg[101]
v_accvgpr_read_b32 v[vgprValuC+118], acc105 // copy acc to vreg[102]
v_accvgpr_read_b32 v[vgprValuC+119], acc109 // copy acc to vreg[103]
v_accvgpr_read_b32 v[vgprValuC+120], acc98 // copy acc to vreg[104]
v_accvgpr_read_b32 v[vgprValuC+121], acc102 // copy acc to vreg[105]
v_accvgpr_read_b32 v[vgprValuC+122], acc106 // copy acc to vreg[106]
v_accvgpr_read_b32 v[vgprValuC+123], acc110 // copy acc to vreg[107]
v_accvgpr_read_b32 v[vgprValuC+128], acc99 // copy acc to vreg[108]
v_accvgpr_read_b32 v[vgprValuC+129], acc103 // copy acc to vreg[109]
v_accvgpr_read_b32 v[vgprValuC+130], acc107 // copy acc to vreg[110]
v_accvgpr_read_b32 v[vgprValuC+131], acc111 // copy acc to vreg[111]
v_accvgpr_read_b32 v[vgprValuC+132], acc112 // copy acc to vreg[112]
v_accvgpr_read_b32 v[vgprValuC+133], acc116 // copy acc to vreg[113]
v_accvgpr_read_b32 v[vgprValuC+134], acc120 // copy acc to vreg[114]
v_accvgpr_read_b32 v[vgprValuC+135], acc124 // copy acc to vreg[115]
v_accvgpr_read_b32 v[vgprValuC+136], acc113 // copy acc to vreg[116]
v_accvgpr_read_b32 v[vgprValuC+137], acc117 // copy acc to vreg[117]
v_accvgpr_read_b32 v[vgprValuC+138], acc121 // copy acc to vreg[118]
v_accvgpr_read_b32 v[vgprValuC+139], acc125 // copy acc to vreg[119]
v_accvgpr_read_b32 v[vgprValuC+140], acc114 // copy acc to vreg[120]
v_accvgpr_read_b32 v[vgprValuC+141], acc118 // copy acc to vreg[121]
v_accvgpr_read_b32 v[vgprValuC+142], acc122 // copy acc to vreg[122]
v_accvgpr_read_b32 v[vgprValuC+143], acc126 // copy acc to vreg[123]
v_accvgpr_read_b32 v[vgprValuC+144], acc115 // copy acc to vreg[124]
v_accvgpr_read_b32 v[vgprValuC+145], acc119 // copy acc to vreg[125]
v_accvgpr_read_b32 v[vgprValuC+146], acc123 // copy acc to vreg[126]
v_accvgpr_read_b32 v[vgprValuC+147], acc127 // copy acc to vreg[127]
v_accvgpr_read_b32 v[vgprValuC+148], acc128 // copy acc to vreg[128]
v_accvgpr_read_b32 v[vgprValuC+149], acc132 // copy acc to vreg[129]
v_accvgpr_read_b32 v[vgprValuC+150], acc136 // copy acc to vreg[130]
v_accvgpr_read_b32 v[vgprValuC+151], acc140 // copy acc to vreg[131]
v_accvgpr_read_b32 v[vgprValuC+152], acc129 // copy acc to vreg[132]
v_accvgpr_read_b32 v[vgprValuC+153], acc133 // copy acc to vreg[133]
v_accvgpr_read_b32 v[vgprValuC+154], acc137 // copy acc to vreg[134]
v_accvgpr_read_b32 v[vgprValuC+155], acc141 // copy acc to vreg[135]
v_accvgpr_read_b32 v[vgprValuC+156], acc130 // copy acc to vreg[136]
v_accvgpr_read_b32 v[vgprValuC+157], acc134 // copy acc to vreg[137]
v_accvgpr_read_b32 v[vgprValuC+158], acc138 // copy acc to vreg[138]
v_accvgpr_read_b32 v[vgprValuC+159], acc142 // copy acc to vreg[139]
v_accvgpr_read_b32 v[vgprValuC+160], acc131 // copy acc to vreg[140]
v_accvgpr_read_b32 v[vgprValuC+161], acc135 // copy acc to vreg[141]
v_accvgpr_read_b32 v[vgprValuC+162], acc139 // copy acc to vreg[142]
v_accvgpr_read_b32 v[vgprValuC+163], acc143 // copy acc to vreg[143]
v_accvgpr_read_b32 v[vgprValuC+164], acc144 // copy acc to vreg[144]
v_accvgpr_read_b32 v[vgprValuC+165], acc148 // copy acc to vreg[145]
v_accvgpr_read_b32 v[vgprValuC+166], acc152 // copy acc to vreg[146]
v_accvgpr_read_b32 v[vgprValuC+167], acc156 // copy acc to vreg[147]
v_accvgpr_read_b32 v[vgprValuC+168], acc145 // copy acc to vreg[148]
v_accvgpr_read_b32 v[vgprValuC+169], acc149 // copy acc to vreg[149]
v_accvgpr_read_b32 v[vgprValuC+170], acc153 // copy acc to vreg[150]
v_accvgpr_read_b32 v[vgprValuC+171], acc157 // copy acc to vreg[151]
v_accvgpr_read_b32 v[vgprValuC+172], acc146 // copy acc to vreg[152]
v_accvgpr_read_b32 v[vgprValuC+173], acc150 // copy acc to vreg[153]
v_accvgpr_read_b32 v[vgprValuC+174], acc154 // copy acc to vreg[154]
v_accvgpr_read_b32 v[vgprValuC+175], acc158 // copy acc to vreg[155]
v_accvgpr_read_b32 v[vgprValuC+176], acc147 // copy acc to vreg[156]
v_accvgpr_read_b32 v[vgprValuC+177], acc151 // copy acc to vreg[157]
v_accvgpr_read_b32 v[vgprValuC+178], acc155 // copy acc to vreg[158]
v_accvgpr_read_b32 v[vgprValuC+179], acc159 // copy acc to vreg[159]
v_accvgpr_read_b32 v[vgprValuC+180], acc160 // copy acc to vreg[160]
v_accvgpr_read_b32 v[vgprValuC+181], acc164 // copy acc to vreg[161]
v_accvgpr_read_b32 v[vgprValuC+182], acc168 // copy acc to vreg[162]
v_accvgpr_read_b32 v[vgprValuC+183], acc172 // copy acc to vreg[163]
v_accvgpr_read_b32 v[vgprValuC+184], acc161 // copy acc to vreg[164]
v_accvgpr_read_b32 v[vgprValuC+185], acc165 // copy acc to vreg[165]
v_accvgpr_read_b32 v[vgprValuC+186], acc169 // copy acc to vreg[166]
v_accvgpr_read_b32 v[vgprValuC+187], acc173 // copy acc to vreg[167]
v_accvgpr_read_b32 v[vgprValuC+188], acc162 // copy acc to vreg[168]
v_accvgpr_read_b32 v[vgprValuC+189], acc166 // copy acc to vreg[169]
v_accvgpr_read_b32 v[vgprValuC+190], acc170 // copy acc to vreg[170]
v_accvgpr_read_b32 v[vgprValuC+191], acc174 // copy acc to vreg[171]
v_accvgpr_read_b32 v[vgprValuC+192], acc163 // copy acc to vreg[172]
v_accvgpr_read_b32 v[vgprValuC+193], acc167 // copy acc to vreg[173]
v_accvgpr_read_b32 v[vgprValuC+194], acc171 // copy acc to vreg[174]
v_accvgpr_read_b32 v[vgprValuC+195], acc175 // copy acc to vreg[175]
v_accvgpr_read_b32 v[vgprValuC+196], acc176 // copy acc to vreg[176]
v_accvgpr_read_b32 v[vgprValuC+197], acc180 // copy acc to vreg[177]
v_accvgpr_read_b32 v[vgprValuC+198], acc184 // copy acc to vreg[178]
v_accvgpr_read_b32 v[vgprValuC+199], acc188 // copy acc to vreg[179]
v_accvgpr_read_b32 v[vgprValuC+200], acc177 // copy acc to vreg[180]
v_accvgpr_read_b32 v[vgprValuC+201], acc181 // copy acc to vreg[181]
v_accvgpr_read_b32 v[vgprValuC+202], acc185 // copy acc to vreg[182]
v_accvgpr_read_b32 v[vgprValuC+203], acc189 // copy acc to vreg[183]
v_accvgpr_read_b32 v[vgprValuC+204], acc178 // copy acc to vreg[184]
v_accvgpr_read_b32 v[vgprValuC+205], acc182 // copy acc to vreg[185]
v_accvgpr_read_b32 v[vgprValuC+206], acc186 // copy acc to vreg[186]
v_accvgpr_read_b32 v[vgprValuC+207], acc190 // copy acc to vreg[187]
v_accvgpr_read_b32 v[vgprValuC+208], acc179 // copy acc to vreg[188]
v_accvgpr_read_b32 v[vgprValuC+209], acc183 // copy acc to vreg[189]
v_accvgpr_read_b32 v[vgprValuC+210], acc187 // copy acc to vreg[190]
v_accvgpr_read_b32 v[vgprValuC+211], acc191 // copy acc to vreg[191]
v_accvgpr_read_b32 v[vgprValuC+212], acc192 // copy acc to vreg[192]
v_accvgpr_read_b32 v[vgprValuC+213], acc196 // copy acc to vreg[193]
v_accvgpr_read_b32 v[vgprValuC+214], acc200 // copy acc to vreg[194]
v_accvgpr_read_b32 v[vgprValuC+215], acc204 // copy acc to vreg[195]
v_accvgpr_read_b32 v[vgprValuC+216], acc193 // copy acc to vreg[196]
v_accvgpr_read_b32 v[vgprValuC+217], acc197 // copy acc to vreg[197]
v_accvgpr_read_b32 v[vgprValuC+218], acc201 // copy acc to vreg[198]
v_accvgpr_read_b32 v[vgprValuC+219], acc205 // copy acc to vreg[199]
v_accvgpr_read_b32 v[vgprValuC+220], acc194 // copy acc to vreg[200]
v_accvgpr_read_b32 v[vgprValuC+221], acc198 // copy acc to vreg[201]
v_accvgpr_read_b32 v[vgprValuC+222], acc202 // copy acc to vreg[202]
v_accvgpr_read_b32 v[vgprValuC+223], acc206 // copy acc to vreg[203]
v_accvgpr_read_b32 v[vgprValuC+224], acc195 // copy acc to vreg[204]
v_accvgpr_read_b32 v[vgprValuC+225], acc199 // copy acc to vreg[205]
v_accvgpr_read_b32 v[vgprValuC+226], acc203 // copy acc to vreg[206]
v_accvgpr_read_b32 v[vgprValuC+227], acc207 // copy acc to vreg[207]
v_accvgpr_read_b32 v[vgprValuC+228], acc208 // copy acc to vreg[208]
v_accvgpr_read_b32 v[vgprValuC+229], acc212 // copy acc to vreg[209]
v_accvgpr_read_b32 v[vgprValuC+230], acc216 // copy acc to vreg[210]
v_accvgpr_read_b32 v[vgprValuC+231], acc220 // copy acc to vreg[211]
v_accvgpr_read_b32 v[vgprValuC+232], acc209 // copy acc to vreg[212]
v_accvgpr_read_b32 v[vgprValuC+233], acc213 // copy acc to vreg[213]
v_accvgpr_read_b32 v[vgprValuC+234], acc217 // copy acc to vreg[214]
v_accvgpr_read_b32 v[vgprValuC+235], acc221 // copy acc to vreg[215]
v_accvgpr_read_b32 v[vgprValuC+236], acc210 // copy acc to vreg[216]
v_accvgpr_read_b32 v[vgprValuC+237], acc214 // copy acc to vreg[217]
v_accvgpr_read_b32 v[vgprValuC+238], acc218 // copy acc to vreg[218]
v_accvgpr_read_b32 v[vgprValuC+239], acc222 // copy acc to vreg[219]
v_accvgpr_read_b32 v[vgprValuC+240], acc211 // copy acc to vreg[220]
v_accvgpr_read_b32 v[vgprValuC+241], acc215 // copy acc to vreg[221]
v_accvgpr_read_b32 v[vgprValuC+242], acc219 // copy acc to vreg[222]
v_accvgpr_read_b32 v[vgprValuC+243], acc223 // copy acc to vreg[223]
v_accvgpr_read_b32 v[vgprValuC+244], acc224 // copy acc to vreg[224]
v_accvgpr_read_b32 v[vgprValuC+245], acc228 // copy acc to vreg[225]
v_accvgpr_read_b32 v[vgprValuC+246], acc232 // copy acc to vreg[226]
v_accvgpr_read_b32 v[vgprValuC+247], acc236 // copy acc to vreg[227]
v_accvgpr_read_b32 v[vgprValuC+248], acc225 // copy acc to vreg[228]
v_accvgpr_read_b32 v[vgprValuC+249], acc229 // copy acc to vreg[229]
v_accvgpr_read_b32 v[vgprValuC+250], acc233 // copy acc to vreg[230]
v_accvgpr_read_b32 v[vgprValuC+251], acc237 // copy acc to vreg[231]
v_accvgpr_read_b32 v[vgprValuC+252], acc226 // copy acc to vreg[232]
v_accvgpr_read_b32 v[vgprValuC+253], acc230 // copy acc to vreg[233]
v_accvgpr_read_b32 v[vgprValuC+254], acc234 // copy acc to vreg[234]
v_accvgpr_read_b32 v[vgprValuC+255], acc238 // copy acc to vreg[235]
s_nop 1                                            // 2 wait states required before reading vgpr

/* apply mask, calc new C and issue writes */
v_mov_b32 v10, 0x207                               // flag for Nan and +/- inf
v_mov_b32 v8, 0x47600000                           // save 57344.0f as max for clipping
v_mov_b32 v9, 0xC7600000                           // save -57344`.0f as min for clipping
v_cmp_class_f32 s[54:55], v[vgprValuC+16], v10     // check NaN and +/-INF
v_med3_f32 v6, v[vgprValuC+16], v8, v9             // Clipping f32 value if exceeds the limit
v_cndmask_b32 v6, v6, v[vgprValuC+16], s[54:55]    // 
v_cmp_class_f32 s[54:55], v[vgprValuC+17], v10     // check NaN and +/-INF
v_med3_f32 v7, v[vgprValuC+17], v8, v9             // Clipping f32 value if exceeds the limit
v_cndmask_b32 v7, v7, v[vgprValuC+17], s[54:55]    // 
v_cvt_pk_bf8_f32  v16, v6, v7 op_sel:[0,0,0]       // convert two f32 accumulated values to fp8 and save it to lo_16[0:15]
v_cmp_class_f32 s[54:55], v[vgprValuC+18], v10     // check NaN and +/-INF
v_med3_f32 v6, v[vgprValuC+18], v8, v9             // Clipping f32 value if exceeds the limit
v_cndmask_b32 v6, v6, v[vgprValuC+18], s[54:55]    // 
v_cmp_class_f32 s[54:55], v[vgprValuC+19], v10     // check NaN and +/-INF
v_med3_f32 v7, v[vgprValuC+19], v8, v9             // Clipping f32 value if exceeds the limit
v_cndmask_b32 v7, v7, v[vgprValuC+19], s[54:55]    // 
v_cvt_pk_bf8_f32  v16, v6, v7 op_sel:[0,0,1]       // convert two f32 accumulated values to fp8 and save it to hi_16[16:31]
_buffer_store_b32 v16, v11, s[sgprSrdD:sgprSrdD+3], 0, offen, offset:0,  sc0 sc1 // store D
v_cmp_class_f32 s[54:55], v[vgprValuC+20], v10     // check NaN and +/-INF
v_med3_f32 v6, v[vgprValuC+20], v8, v9             // Clipping f32 value if exceeds the limit
v_cndmask_b32 v6, v6, v[vgprValuC+20], s[54:55]    // 
v_cmp_class_f32 s[54:55], v[vgprValuC+21], v10     // check NaN and +/-INF
v_med3_f32 v7, v[vgprValuC+21], v8, v9             // Clipping f32 value if exceeds the limit
v_cndmask_b32 v7, v7, v[vgprValuC+21], s[54:55]    // 
v_cvt_pk_bf8_f32  v20, v6, v7 op_sel:[0,0,0]       // convert two f32 accumulated values to fp8 and save it to lo_16[0:15]
v_cmp_class_f32 s[54:55], v[vgprValuC+22], v10     // check NaN and +/-INF
v_med3_f32 v6, v[vgprValuC+22], v8, v9             // Clipping f32 value if exceeds the limit
v_cndmask_b32 v6, v6, v[vgprValuC+22], s[54:55]    // 
v_cmp_class_f32 s[54:55], v[vgprValuC+23], v10     // check NaN and +/-INF
v_med3_f32 v7, v[vgprValuC+23], v8, v9             // Clipping f32 value if exceeds the limit
v_cndmask_b32 v7, v7, v[vgprValuC+23], s[54:55]    // 
v_cvt_pk_bf8_f32  v20, v6, v7 op_sel:[0,0,1]       // convert two f32 accumulated values to fp8 and save it to hi_16[16:31]
s_lshl_b32  s54, s[sgprStrideD1J], 0               // incToNextRow: Scale by BPE
s_add_u32  s[sgprSrdD+0], s[sgprSrdD+0], s54       // incToNextRow: gra SRD += inc(lower)
s_addc_u32  s[sgprSrdD+1], s[sgprSrdD+1], 0        // incToNextRow: gra SRD += inc(upper)
_buffer_store_b32 v20, v11, s[sgprSrdD:sgprSrdD+3], 0, offen, offset:0,  sc0 sc1 // store D
v_cmp_class_f32 s[54:55], v[vgprValuC+24], v10     // check NaN and +/-INF
v_med3_f32 v6, v[vgprValuC+24], v8, v9             // Clipping f32 value if exceeds the limit
v_cndmask_b32 v6, v6, v[vgprValuC+24], s[54:55]    // 
v_cmp_class_f32 s[54:55], v[vgprValuC+25], v10     // check NaN and +/-INF
v_med3_f32 v7, v[vgprValuC+25], v8, v9             // Clipping f32 value if exceeds the limit
v_cndmask_b32 v7, v7, v[vgprValuC+25], s[54:55]    // 
v_cvt_pk_bf8_f32  v24, v6, v7 op_sel:[0,0,0]       // convert two f32 accumulated values to fp8 and save it to lo_16[0:15]
v_cmp_class_f32 s[54:55], v[vgprValuC+26], v10     // check NaN and +/-INF
v_med3_f32 v6, v[vgprValuC+26], v8, v9             // Clipping f32 value if exceeds the limit
v_cndmask_b32 v6, v6, v[vgprValuC+26], s[54:55]    // 
v_cmp_class_f32 s[54:55], v[vgprValuC+27], v10     // check NaN and +/-INF
v_med3_f32 v7, v[vgprValuC+27], v8, v9             // Clipping f32 value if exceeds the limit
v_cndmask_b32 v7, v7, v[vgprValuC+27], s[54:55]    // 
v_cvt_pk_bf8_f32  v24, v6, v7 op_sel:[0,0,1]       // convert two f32 accumulated values to fp8 and save it to hi_16[16:31]
s_lshl_b32  s54, s[sgprStrideD1J], 0               // incToNextRow: Scale by BPE
s_add_u32  s[sgprSrdD+0], s[sgprSrdD+0], s54       // incToNextRow: gra SRD += inc(lower)
s_addc_u32  s[sgprSrdD+1], s[sgprSrdD+1], 0        // incToNextRow: gra SRD += inc(upper)
	;; [unrolled: 18-line block ×3, first 2 shown]
_buffer_store_b32 v28, v11, s[sgprSrdD:sgprSrdD+3], 0, offen, offset:0,  sc0 sc1 // store D
v_cmp_class_f32 s[54:55], v[vgprValuC+32], v10     // check NaN and +/-INF
v_med3_f32 v6, v[vgprValuC+32], v8, v9             // Clipping f32 value if exceeds the limit
v_cndmask_b32 v6, v6, v[vgprValuC+32], s[54:55]    // 
v_cmp_class_f32 s[54:55], v[vgprValuC+33], v10     // check NaN and +/-INF
v_med3_f32 v7, v[vgprValuC+33], v8, v9             // Clipping f32 value if exceeds the limit
v_cndmask_b32 v7, v7, v[vgprValuC+33], s[54:55]    // 
v_cvt_pk_bf8_f32  v32, v6, v7 op_sel:[0,0,0]       // convert two f32 accumulated values to fp8 and save it to lo_16[0:15]
v_cmp_class_f32 s[54:55], v[vgprValuC+34], v10     // check NaN and +/-INF
v_med3_f32 v6, v[vgprValuC+34], v8, v9             // Clipping f32 value if exceeds the limit
v_cndmask_b32 v6, v6, v[vgprValuC+34], s[54:55]    // 
v_cmp_class_f32 s[54:55], v[vgprValuC+35], v10     // check NaN and +/-INF
v_med3_f32 v7, v[vgprValuC+35], v8, v9             // Clipping f32 value if exceeds the limit
v_cndmask_b32 v7, v7, v[vgprValuC+35], s[54:55]    // 
v_cvt_pk_bf8_f32  v32, v6, v7 op_sel:[0,0,1]       // convert two f32 accumulated values to fp8 and save it to hi_16[16:31]
s_mul_i32 s54, s[sgprStrideD1J], 13                // scale StrideD *= numRows(13) * bpe
s_add_u32  s[sgprSrdD+0], s[sgprSrdD+0], s54       // incToNextRow: gra SRD += inc(lower)
s_addc_u32  s[sgprSrdD+1], s[sgprSrdD+1], 0        // incToNextRow: gra SRD += inc(upper)
_buffer_store_b32 v32, v11, s[sgprSrdD:sgprSrdD+3], 0, offen, offset:0,  sc0 sc1 // store D
v_cmp_class_f32 s[54:55], v[vgprValuC+36], v10     // check NaN and +/-INF
v_med3_f32 v6, v[vgprValuC+36], v8, v9             // Clipping f32 value if exceeds the limit
v_cndmask_b32 v6, v6, v[vgprValuC+36], s[54:55]    // 
v_cmp_class_f32 s[54:55], v[vgprValuC+37], v10     // check NaN and +/-INF
v_med3_f32 v7, v[vgprValuC+37], v8, v9             // Clipping f32 value if exceeds the limit
v_cndmask_b32 v7, v7, v[vgprValuC+37], s[54:55]    // 
v_cvt_pk_bf8_f32  v36, v6, v7 op_sel:[0,0,0]       // convert two f32 accumulated values to fp8 and save it to lo_16[0:15]
v_cmp_class_f32 s[54:55], v[vgprValuC+38], v10     // check NaN and +/-INF
v_med3_f32 v6, v[vgprValuC+38], v8, v9             // Clipping f32 value if exceeds the limit
v_cndmask_b32 v6, v6, v[vgprValuC+38], s[54:55]    // 
v_cmp_class_f32 s[54:55], v[vgprValuC+39], v10     // check NaN and +/-INF
v_med3_f32 v7, v[vgprValuC+39], v8, v9             // Clipping f32 value if exceeds the limit
v_cndmask_b32 v7, v7, v[vgprValuC+39], s[54:55]    // 
v_cvt_pk_bf8_f32  v36, v6, v7 op_sel:[0,0,1]       // convert two f32 accumulated values to fp8 and save it to hi_16[16:31]
s_lshl_b32  s54, s[sgprStrideD1J], 0               // incToNextRow: Scale by BPE
s_add_u32  s[sgprSrdD+0], s[sgprSrdD+0], s54       // incToNextRow: gra SRD += inc(lower)
s_addc_u32  s[sgprSrdD+1], s[sgprSrdD+1], 0        // incToNextRow: gra SRD += inc(upper)
_buffer_store_b32 v36, v11, s[sgprSrdD:sgprSrdD+3], 0, offen, offset:0,  sc0 sc1 // store D
v_cmp_class_f32 s[54:55], v[vgprValuC+40], v10     // check NaN and +/-INF
v_med3_f32 v6, v[vgprValuC+40], v8, v9             // Clipping f32 value if exceeds the limit
v_cndmask_b32 v6, v6, v[vgprValuC+40], s[54:55]    // 
v_cmp_class_f32 s[54:55], v[vgprValuC+41], v10     // check NaN and +/-INF
v_med3_f32 v7, v[vgprValuC+41], v8, v9             // Clipping f32 value if exceeds the limit
v_cndmask_b32 v7, v7, v[vgprValuC+41], s[54:55]    // 
v_cvt_pk_bf8_f32  v40, v6, v7 op_sel:[0,0,0]       // convert two f32 accumulated values to fp8 and save it to lo_16[0:15]
v_cmp_class_f32 s[54:55], v[vgprValuC+42], v10     // check NaN and +/-INF
v_med3_f32 v6, v[vgprValuC+42], v8, v9             // Clipping f32 value if exceeds the limit
v_cndmask_b32 v6, v6, v[vgprValuC+42], s[54:55]    // 
v_cmp_class_f32 s[54:55], v[vgprValuC+43], v10     // check NaN and +/-INF
v_med3_f32 v7, v[vgprValuC+43], v8, v9             // Clipping f32 value if exceeds the limit
v_cndmask_b32 v7, v7, v[vgprValuC+43], s[54:55]    // 
v_cvt_pk_bf8_f32  v40, v6, v7 op_sel:[0,0,1]       // convert two f32 accumulated values to fp8 and save it to hi_16[16:31]
s_lshl_b32  s54, s[sgprStrideD1J], 0               // incToNextRow: Scale by BPE
	;; [unrolled: 18-line block ×3, first 2 shown]
s_add_u32  s[sgprSrdD+0], s[sgprSrdD+0], s54       // incToNextRow: gra SRD += inc(lower)
s_addc_u32  s[sgprSrdD+1], s[sgprSrdD+1], 0        // incToNextRow: gra SRD += inc(upper)
_buffer_store_b32 v44, v11, s[sgprSrdD:sgprSrdD+3], 0, offen, offset:0,  sc0 sc1 // store D
v_cmp_class_f32 s[54:55], v[vgprValuC+48], v10     // check NaN and +/-INF
v_med3_f32 v6, v[vgprValuC+48], v8, v9             // Clipping f32 value if exceeds the limit
v_cndmask_b32 v6, v6, v[vgprValuC+48], s[54:55]    // 
v_cmp_class_f32 s[54:55], v[vgprValuC+49], v10     // check NaN and +/-INF
v_med3_f32 v7, v[vgprValuC+49], v8, v9             // Clipping f32 value if exceeds the limit
v_cndmask_b32 v7, v7, v[vgprValuC+49], s[54:55]    // 
v_cvt_pk_bf8_f32  v48, v6, v7 op_sel:[0,0,0]       // convert two f32 accumulated values to fp8 and save it to lo_16[0:15]
v_cmp_class_f32 s[54:55], v[vgprValuC+50], v10     // check NaN and +/-INF
v_med3_f32 v6, v[vgprValuC+50], v8, v9             // Clipping f32 value if exceeds the limit
v_cndmask_b32 v6, v6, v[vgprValuC+50], s[54:55]    // 
v_cmp_class_f32 s[54:55], v[vgprValuC+51], v10     // check NaN and +/-INF
v_med3_f32 v7, v[vgprValuC+51], v8, v9             // Clipping f32 value if exceeds the limit
v_cndmask_b32 v7, v7, v[vgprValuC+51], s[54:55]    // 
v_cvt_pk_bf8_f32  v48, v6, v7 op_sel:[0,0,1]       // convert two f32 accumulated values to fp8 and save it to hi_16[16:31]
s_mul_i32 s54, s[sgprStrideD1J], 13                // scale StrideD *= numRows(13) * bpe
s_add_u32  s[sgprSrdD+0], s[sgprSrdD+0], s54       // incToNextRow: gra SRD += inc(lower)
s_addc_u32  s[sgprSrdD+1], s[sgprSrdD+1], 0        // incToNextRow: gra SRD += inc(upper)
_buffer_store_b32 v48, v11, s[sgprSrdD:sgprSrdD+3], 0, offen, offset:0,  sc0 sc1 // store D
v_cmp_class_f32 s[54:55], v[vgprValuC+52], v10     // check NaN and +/-INF
v_med3_f32 v6, v[vgprValuC+52], v8, v9             // Clipping f32 value if exceeds the limit
v_cndmask_b32 v6, v6, v[vgprValuC+52], s[54:55]    // 
v_cmp_class_f32 s[54:55], v[vgprValuC+53], v10     // check NaN and +/-INF
v_med3_f32 v7, v[vgprValuC+53], v8, v9             // Clipping f32 value if exceeds the limit
v_cndmask_b32 v7, v7, v[vgprValuC+53], s[54:55]    // 
v_cvt_pk_bf8_f32  v52, v6, v7 op_sel:[0,0,0]       // convert two f32 accumulated values to fp8 and save it to lo_16[0:15]
v_cmp_class_f32 s[54:55], v[vgprValuC+54], v10     // check NaN and +/-INF
v_med3_f32 v6, v[vgprValuC+54], v8, v9             // Clipping f32 value if exceeds the limit
v_cndmask_b32 v6, v6, v[vgprValuC+54], s[54:55]    // 
v_cmp_class_f32 s[54:55], v[vgprValuC+55], v10     // check NaN and +/-INF
v_med3_f32 v7, v[vgprValuC+55], v8, v9             // Clipping f32 value if exceeds the limit
v_cndmask_b32 v7, v7, v[vgprValuC+55], s[54:55]    // 
v_cvt_pk_bf8_f32  v52, v6, v7 op_sel:[0,0,1]       // convert two f32 accumulated values to fp8 and save it to hi_16[16:31]
s_lshl_b32  s54, s[sgprStrideD1J], 0               // incToNextRow: Scale by BPE
s_add_u32  s[sgprSrdD+0], s[sgprSrdD+0], s54       // incToNextRow: gra SRD += inc(lower)
s_addc_u32  s[sgprSrdD+1], s[sgprSrdD+1], 0        // incToNextRow: gra SRD += inc(upper)
_buffer_store_b32 v52, v11, s[sgprSrdD:sgprSrdD+3], 0, offen, offset:0,  sc0 sc1 // store D
v_cmp_class_f32 s[54:55], v[vgprValuC+56], v10     // check NaN and +/-INF
v_med3_f32 v6, v[vgprValuC+56], v8, v9             // Clipping f32 value if exceeds the limit
v_cndmask_b32 v6, v6, v[vgprValuC+56], s[54:55]    // 
v_cmp_class_f32 s[54:55], v[vgprValuC+57], v10     // check NaN and +/-INF
v_med3_f32 v7, v[vgprValuC+57], v8, v9             // Clipping f32 value if exceeds the limit
v_cndmask_b32 v7, v7, v[vgprValuC+57], s[54:55]    // 
v_cvt_pk_bf8_f32  v56, v6, v7 op_sel:[0,0,0]       // convert two f32 accumulated values to fp8 and save it to lo_16[0:15]
v_cmp_class_f32 s[54:55], v[vgprValuC+58], v10     // check NaN and +/-INF
v_med3_f32 v6, v[vgprValuC+58], v8, v9             // Clipping f32 value if exceeds the limit
v_cndmask_b32 v6, v6, v[vgprValuC+58], s[54:55]    // 
v_cmp_class_f32 s[54:55], v[vgprValuC+59], v10     // check NaN and +/-INF
v_med3_f32 v7, v[vgprValuC+59], v8, v9             // Clipping f32 value if exceeds the limit
v_cndmask_b32 v7, v7, v[vgprValuC+59], s[54:55]    // 
v_cvt_pk_bf8_f32  v56, v6, v7 op_sel:[0,0,1]       // convert two f32 accumulated values to fp8 and save it to hi_16[16:31]
s_lshl_b32  s54, s[sgprStrideD1J], 0               // incToNextRow: Scale by BPE
	;; [unrolled: 18-line block ×3, first 2 shown]
s_add_u32  s[sgprSrdD+0], s[sgprSrdD+0], s54       // incToNextRow: gra SRD += inc(lower)
s_addc_u32  s[sgprSrdD+1], s[sgprSrdD+1], 0        // incToNextRow: gra SRD += inc(upper)
_buffer_store_b32 v60, v11, s[sgprSrdD:sgprSrdD+3], 0, offen, offset:0,  sc0 sc1 // store D
v_cmp_class_f32 s[54:55], v[vgprValuC+64], v10     // check NaN and +/-INF
v_med3_f32 v6, v[vgprValuC+64], v8, v9             // Clipping f32 value if exceeds the limit
v_cndmask_b32 v6, v6, v[vgprValuC+64], s[54:55]    // 
v_cmp_class_f32 s[54:55], v[vgprValuC+65], v10     // check NaN and +/-INF
v_med3_f32 v7, v[vgprValuC+65], v8, v9             // Clipping f32 value if exceeds the limit
v_cndmask_b32 v7, v7, v[vgprValuC+65], s[54:55]    // 
v_cvt_pk_bf8_f32  v64, v6, v7 op_sel:[0,0,0]       // convert two f32 accumulated values to fp8 and save it to lo_16[0:15]
v_cmp_class_f32 s[54:55], v[vgprValuC+66], v10     // check NaN and +/-INF
v_med3_f32 v6, v[vgprValuC+66], v8, v9             // Clipping f32 value if exceeds the limit
v_cndmask_b32 v6, v6, v[vgprValuC+66], s[54:55]    // 
v_cmp_class_f32 s[54:55], v[vgprValuC+67], v10     // check NaN and +/-INF
v_med3_f32 v7, v[vgprValuC+67], v8, v9             // Clipping f32 value if exceeds the limit
v_cndmask_b32 v7, v7, v[vgprValuC+67], s[54:55]    // 
v_cvt_pk_bf8_f32  v64, v6, v7 op_sel:[0,0,1]       // convert two f32 accumulated values to fp8 and save it to hi_16[16:31]
s_mul_i32 s54, s[sgprStrideD1J], 13                // scale StrideD *= numRows(13) * bpe
s_add_u32  s[sgprSrdD+0], s[sgprSrdD+0], s54       // incToNextRow: gra SRD += inc(lower)
s_addc_u32  s[sgprSrdD+1], s[sgprSrdD+1], 0        // incToNextRow: gra SRD += inc(upper)
_buffer_store_b32 v64, v11, s[sgprSrdD:sgprSrdD+3], 0, offen, offset:0,  sc0 sc1 // store D
v_cmp_class_f32 s[54:55], v[vgprValuC+68], v10     // check NaN and +/-INF
v_med3_f32 v6, v[vgprValuC+68], v8, v9             // Clipping f32 value if exceeds the limit
v_cndmask_b32 v6, v6, v[vgprValuC+68], s[54:55]    // 
v_cmp_class_f32 s[54:55], v[vgprValuC+69], v10     // check NaN and +/-INF
v_med3_f32 v7, v[vgprValuC+69], v8, v9             // Clipping f32 value if exceeds the limit
v_cndmask_b32 v7, v7, v[vgprValuC+69], s[54:55]    // 
v_cvt_pk_bf8_f32  v68, v6, v7 op_sel:[0,0,0]       // convert two f32 accumulated values to fp8 and save it to lo_16[0:15]
v_cmp_class_f32 s[54:55], v[vgprValuC+70], v10     // check NaN and +/-INF
v_med3_f32 v6, v[vgprValuC+70], v8, v9             // Clipping f32 value if exceeds the limit
v_cndmask_b32 v6, v6, v[vgprValuC+70], s[54:55]    // 
v_cmp_class_f32 s[54:55], v[vgprValuC+71], v10     // check NaN and +/-INF
v_med3_f32 v7, v[vgprValuC+71], v8, v9             // Clipping f32 value if exceeds the limit
v_cndmask_b32 v7, v7, v[vgprValuC+71], s[54:55]    // 
v_cvt_pk_bf8_f32  v68, v6, v7 op_sel:[0,0,1]       // convert two f32 accumulated values to fp8 and save it to hi_16[16:31]
s_lshl_b32  s54, s[sgprStrideD1J], 0               // incToNextRow: Scale by BPE
s_add_u32  s[sgprSrdD+0], s[sgprSrdD+0], s54       // incToNextRow: gra SRD += inc(lower)
s_addc_u32  s[sgprSrdD+1], s[sgprSrdD+1], 0        // incToNextRow: gra SRD += inc(upper)
_buffer_store_b32 v68, v11, s[sgprSrdD:sgprSrdD+3], 0, offen, offset:0,  sc0 sc1 // store D
v_cmp_class_f32 s[54:55], v[vgprValuC+72], v10     // check NaN and +/-INF
v_med3_f32 v6, v[vgprValuC+72], v8, v9             // Clipping f32 value if exceeds the limit
v_cndmask_b32 v6, v6, v[vgprValuC+72], s[54:55]    // 
v_cmp_class_f32 s[54:55], v[vgprValuC+73], v10     // check NaN and +/-INF
v_med3_f32 v7, v[vgprValuC+73], v8, v9             // Clipping f32 value if exceeds the limit
v_cndmask_b32 v7, v7, v[vgprValuC+73], s[54:55]    // 
v_cvt_pk_bf8_f32  v72, v6, v7 op_sel:[0,0,0]       // convert two f32 accumulated values to fp8 and save it to lo_16[0:15]
v_cmp_class_f32 s[54:55], v[vgprValuC+74], v10     // check NaN and +/-INF
v_med3_f32 v6, v[vgprValuC+74], v8, v9             // Clipping f32 value if exceeds the limit
v_cndmask_b32 v6, v6, v[vgprValuC+74], s[54:55]    // 
v_cmp_class_f32 s[54:55], v[vgprValuC+75], v10     // check NaN and +/-INF
v_med3_f32 v7, v[vgprValuC+75], v8, v9             // Clipping f32 value if exceeds the limit
v_cndmask_b32 v7, v7, v[vgprValuC+75], s[54:55]    // 
v_cvt_pk_bf8_f32  v72, v6, v7 op_sel:[0,0,1]       // convert two f32 accumulated values to fp8 and save it to hi_16[16:31]
s_lshl_b32  s54, s[sgprStrideD1J], 0               // incToNextRow: Scale by BPE
	;; [unrolled: 18-line block ×3, first 2 shown]
s_add_u32  s[sgprSrdD+0], s[sgprSrdD+0], s54       // incToNextRow: gra SRD += inc(lower)
s_addc_u32  s[sgprSrdD+1], s[sgprSrdD+1], 0        // incToNextRow: gra SRD += inc(upper)
_buffer_store_b32 v76, v11, s[sgprSrdD:sgprSrdD+3], 0, offen, offset:0,  sc0 sc1 // store D
v_cmp_class_f32 s[54:55], v[vgprValuC+80], v10     // check NaN and +/-INF
v_med3_f32 v6, v[vgprValuC+80], v8, v9             // Clipping f32 value if exceeds the limit
v_cndmask_b32 v6, v6, v[vgprValuC+80], s[54:55]    // 
v_cmp_class_f32 s[54:55], v[vgprValuC+81], v10     // check NaN and +/-INF
v_med3_f32 v7, v[vgprValuC+81], v8, v9             // Clipping f32 value if exceeds the limit
v_cndmask_b32 v7, v7, v[vgprValuC+81], s[54:55]    // 
v_cvt_pk_bf8_f32  v80, v6, v7 op_sel:[0,0,0]       // convert two f32 accumulated values to fp8 and save it to lo_16[0:15]
v_cmp_class_f32 s[54:55], v[vgprValuC+82], v10     // check NaN and +/-INF
v_med3_f32 v6, v[vgprValuC+82], v8, v9             // Clipping f32 value if exceeds the limit
v_cndmask_b32 v6, v6, v[vgprValuC+82], s[54:55]    // 
v_cmp_class_f32 s[54:55], v[vgprValuC+83], v10     // check NaN and +/-INF
v_med3_f32 v7, v[vgprValuC+83], v8, v9             // Clipping f32 value if exceeds the limit
v_cndmask_b32 v7, v7, v[vgprValuC+83], s[54:55]    // 
v_cvt_pk_bf8_f32  v80, v6, v7 op_sel:[0,0,1]       // convert two f32 accumulated values to fp8 and save it to hi_16[16:31]
s_mul_i32 s54, s[sgprStrideD1J], 13                // scale StrideD *= numRows(13) * bpe
s_add_u32  s[sgprSrdD+0], s[sgprSrdD+0], s54       // incToNextRow: gra SRD += inc(lower)
s_addc_u32  s[sgprSrdD+1], s[sgprSrdD+1], 0        // incToNextRow: gra SRD += inc(upper)
_buffer_store_b32 v80, v11, s[sgprSrdD:sgprSrdD+3], 0, offen, offset:0,  sc0 sc1 // store D
v_cmp_class_f32 s[54:55], v[vgprValuC+84], v10     // check NaN and +/-INF
v_med3_f32 v6, v[vgprValuC+84], v8, v9             // Clipping f32 value if exceeds the limit
v_cndmask_b32 v6, v6, v[vgprValuC+84], s[54:55]    // 
v_cmp_class_f32 s[54:55], v[vgprValuC+85], v10     // check NaN and +/-INF
v_med3_f32 v7, v[vgprValuC+85], v8, v9             // Clipping f32 value if exceeds the limit
v_cndmask_b32 v7, v7, v[vgprValuC+85], s[54:55]    // 
v_cvt_pk_bf8_f32  v84, v6, v7 op_sel:[0,0,0]       // convert two f32 accumulated values to fp8 and save it to lo_16[0:15]
v_cmp_class_f32 s[54:55], v[vgprValuC+86], v10     // check NaN and +/-INF
v_med3_f32 v6, v[vgprValuC+86], v8, v9             // Clipping f32 value if exceeds the limit
v_cndmask_b32 v6, v6, v[vgprValuC+86], s[54:55]    // 
v_cmp_class_f32 s[54:55], v[vgprValuC+87], v10     // check NaN and +/-INF
v_med3_f32 v7, v[vgprValuC+87], v8, v9             // Clipping f32 value if exceeds the limit
v_cndmask_b32 v7, v7, v[vgprValuC+87], s[54:55]    // 
v_cvt_pk_bf8_f32  v84, v6, v7 op_sel:[0,0,1]       // convert two f32 accumulated values to fp8 and save it to hi_16[16:31]
s_lshl_b32  s54, s[sgprStrideD1J], 0               // incToNextRow: Scale by BPE
s_add_u32  s[sgprSrdD+0], s[sgprSrdD+0], s54       // incToNextRow: gra SRD += inc(lower)
s_addc_u32  s[sgprSrdD+1], s[sgprSrdD+1], 0        // incToNextRow: gra SRD += inc(upper)
_buffer_store_b32 v84, v11, s[sgprSrdD:sgprSrdD+3], 0, offen, offset:0,  sc0 sc1 // store D
v_cmp_class_f32 s[54:55], v[vgprValuC+88], v10     // check NaN and +/-INF
v_med3_f32 v6, v[vgprValuC+88], v8, v9             // Clipping f32 value if exceeds the limit
v_cndmask_b32 v6, v6, v[vgprValuC+88], s[54:55]    // 
v_cmp_class_f32 s[54:55], v[vgprValuC+89], v10     // check NaN and +/-INF
v_med3_f32 v7, v[vgprValuC+89], v8, v9             // Clipping f32 value if exceeds the limit
v_cndmask_b32 v7, v7, v[vgprValuC+89], s[54:55]    // 
v_cvt_pk_bf8_f32  v88, v6, v7 op_sel:[0,0,0]       // convert two f32 accumulated values to fp8 and save it to lo_16[0:15]
v_cmp_class_f32 s[54:55], v[vgprValuC+90], v10     // check NaN and +/-INF
v_med3_f32 v6, v[vgprValuC+90], v8, v9             // Clipping f32 value if exceeds the limit
v_cndmask_b32 v6, v6, v[vgprValuC+90], s[54:55]    // 
v_cmp_class_f32 s[54:55], v[vgprValuC+91], v10     // check NaN and +/-INF
v_med3_f32 v7, v[vgprValuC+91], v8, v9             // Clipping f32 value if exceeds the limit
v_cndmask_b32 v7, v7, v[vgprValuC+91], s[54:55]    // 
v_cvt_pk_bf8_f32  v88, v6, v7 op_sel:[0,0,1]       // convert two f32 accumulated values to fp8 and save it to hi_16[16:31]
s_lshl_b32  s54, s[sgprStrideD1J], 0               // incToNextRow: Scale by BPE
	;; [unrolled: 18-line block ×3, first 2 shown]
s_add_u32  s[sgprSrdD+0], s[sgprSrdD+0], s54       // incToNextRow: gra SRD += inc(lower)
s_addc_u32  s[sgprSrdD+1], s[sgprSrdD+1], 0        // incToNextRow: gra SRD += inc(upper)
_buffer_store_b32 v92, v11, s[sgprSrdD:sgprSrdD+3], 0, offen, offset:0,  sc0 sc1 // store D
v_cmp_class_f32 s[54:55], v[vgprValuC+96], v10     // check NaN and +/-INF
v_med3_f32 v6, v[vgprValuC+96], v8, v9             // Clipping f32 value if exceeds the limit
v_cndmask_b32 v6, v6, v[vgprValuC+96], s[54:55]    // 
v_cmp_class_f32 s[54:55], v[vgprValuC+97], v10     // check NaN and +/-INF
v_med3_f32 v7, v[vgprValuC+97], v8, v9             // Clipping f32 value if exceeds the limit
v_cndmask_b32 v7, v7, v[vgprValuC+97], s[54:55]    // 
v_cvt_pk_bf8_f32  v96, v6, v7 op_sel:[0,0,0]       // convert two f32 accumulated values to fp8 and save it to lo_16[0:15]
v_cmp_class_f32 s[54:55], v[vgprValuC+98], v10     // check NaN and +/-INF
v_med3_f32 v6, v[vgprValuC+98], v8, v9             // Clipping f32 value if exceeds the limit
v_cndmask_b32 v6, v6, v[vgprValuC+98], s[54:55]    // 
v_cmp_class_f32 s[54:55], v[vgprValuC+99], v10     // check NaN and +/-INF
v_med3_f32 v7, v[vgprValuC+99], v8, v9             // Clipping f32 value if exceeds the limit
v_cndmask_b32 v7, v7, v[vgprValuC+99], s[54:55]    // 
v_cvt_pk_bf8_f32  v96, v6, v7 op_sel:[0,0,1]       // convert two f32 accumulated values to fp8 and save it to hi_16[16:31]
s_mul_i32 s54, s[sgprStrideD1J], 13                // scale StrideD *= numRows(13) * bpe
s_add_u32  s[sgprSrdD+0], s[sgprSrdD+0], s54       // incToNextRow: gra SRD += inc(lower)
s_addc_u32  s[sgprSrdD+1], s[sgprSrdD+1], 0        // incToNextRow: gra SRD += inc(upper)
_buffer_store_b32 v96, v11, s[sgprSrdD:sgprSrdD+3], 0, offen, offset:0,  sc0 sc1 // store D
v_cmp_class_f32 s[54:55], v[vgprValuC+100], v10    // check NaN and +/-INF
v_med3_f32 v6, v[vgprValuC+100], v8, v9            // Clipping f32 value if exceeds the limit
v_cndmask_b32 v6, v6, v[vgprValuC+100], s[54:55]   // 
v_cmp_class_f32 s[54:55], v[vgprValuC+101], v10    // check NaN and +/-INF
v_med3_f32 v7, v[vgprValuC+101], v8, v9            // Clipping f32 value if exceeds the limit
v_cndmask_b32 v7, v7, v[vgprValuC+101], s[54:55]   // 
v_cvt_pk_bf8_f32  v100, v6, v7 op_sel:[0,0,0]      // convert two f32 accumulated values to fp8 and save it to lo_16[0:15]
v_cmp_class_f32 s[54:55], v[vgprValuC+102], v10    // check NaN and +/-INF
v_med3_f32 v6, v[vgprValuC+102], v8, v9            // Clipping f32 value if exceeds the limit
v_cndmask_b32 v6, v6, v[vgprValuC+102], s[54:55]   // 
v_cmp_class_f32 s[54:55], v[vgprValuC+103], v10    // check NaN and +/-INF
v_med3_f32 v7, v[vgprValuC+103], v8, v9            // Clipping f32 value if exceeds the limit
v_cndmask_b32 v7, v7, v[vgprValuC+103], s[54:55]   // 
v_cvt_pk_bf8_f32  v100, v6, v7 op_sel:[0,0,1]      // convert two f32 accumulated values to fp8 and save it to hi_16[16:31]
s_lshl_b32  s54, s[sgprStrideD1J], 0               // incToNextRow: Scale by BPE
s_add_u32  s[sgprSrdD+0], s[sgprSrdD+0], s54       // incToNextRow: gra SRD += inc(lower)
s_addc_u32  s[sgprSrdD+1], s[sgprSrdD+1], 0        // incToNextRow: gra SRD += inc(upper)
_buffer_store_b32 v100, v11, s[sgprSrdD:sgprSrdD+3], 0, offen, offset:0,  sc0 sc1 // store D
v_cmp_class_f32 s[54:55], v[vgprValuC+104], v10    // check NaN and +/-INF
v_med3_f32 v6, v[vgprValuC+104], v8, v9            // Clipping f32 value if exceeds the limit
v_cndmask_b32 v6, v6, v[vgprValuC+104], s[54:55]   // 
v_cmp_class_f32 s[54:55], v[vgprValuC+105], v10    // check NaN and +/-INF
v_med3_f32 v7, v[vgprValuC+105], v8, v9            // Clipping f32 value if exceeds the limit
v_cndmask_b32 v7, v7, v[vgprValuC+105], s[54:55]   // 
v_cvt_pk_bf8_f32  v104, v6, v7 op_sel:[0,0,0]      // convert two f32 accumulated values to fp8 and save it to lo_16[0:15]
v_cmp_class_f32 s[54:55], v[vgprValuC+106], v10    // check NaN and +/-INF
v_med3_f32 v6, v[vgprValuC+106], v8, v9            // Clipping f32 value if exceeds the limit
v_cndmask_b32 v6, v6, v[vgprValuC+106], s[54:55]   // 
v_cmp_class_f32 s[54:55], v[vgprValuC+107], v10    // check NaN and +/-INF
v_med3_f32 v7, v[vgprValuC+107], v8, v9            // Clipping f32 value if exceeds the limit
v_cndmask_b32 v7, v7, v[vgprValuC+107], s[54:55]   // 
v_cvt_pk_bf8_f32  v104, v6, v7 op_sel:[0,0,1]      // convert two f32 accumulated values to fp8 and save it to hi_16[16:31]
s_lshl_b32  s54, s[sgprStrideD1J], 0               // incToNextRow: Scale by BPE
	;; [unrolled: 18-line block ×3, first 2 shown]
s_add_u32  s[sgprSrdD+0], s[sgprSrdD+0], s54       // incToNextRow: gra SRD += inc(lower)
s_addc_u32  s[sgprSrdD+1], s[sgprSrdD+1], 0        // incToNextRow: gra SRD += inc(upper)
_buffer_store_b32 v108, v11, s[sgprSrdD:sgprSrdD+3], 0, offen, offset:0,  sc0 sc1 // store D
v_cmp_class_f32 s[54:55], v[vgprValuC+112], v10    // check NaN and +/-INF
v_med3_f32 v6, v[vgprValuC+112], v8, v9            // Clipping f32 value if exceeds the limit
v_cndmask_b32 v6, v6, v[vgprValuC+112], s[54:55]   // 
v_cmp_class_f32 s[54:55], v[vgprValuC+113], v10    // check NaN and +/-INF
v_med3_f32 v7, v[vgprValuC+113], v8, v9            // Clipping f32 value if exceeds the limit
v_cndmask_b32 v7, v7, v[vgprValuC+113], s[54:55]   // 
v_cvt_pk_bf8_f32  v112, v6, v7 op_sel:[0,0,0]      // convert two f32 accumulated values to fp8 and save it to lo_16[0:15]
v_cmp_class_f32 s[54:55], v[vgprValuC+114], v10    // check NaN and +/-INF
v_med3_f32 v6, v[vgprValuC+114], v8, v9            // Clipping f32 value if exceeds the limit
v_cndmask_b32 v6, v6, v[vgprValuC+114], s[54:55]   // 
v_cmp_class_f32 s[54:55], v[vgprValuC+115], v10    // check NaN and +/-INF
v_med3_f32 v7, v[vgprValuC+115], v8, v9            // Clipping f32 value if exceeds the limit
v_cndmask_b32 v7, v7, v[vgprValuC+115], s[54:55]   // 
v_cvt_pk_bf8_f32  v112, v6, v7 op_sel:[0,0,1]      // convert two f32 accumulated values to fp8 and save it to hi_16[16:31]
s_mul_i32 s54, s[sgprStrideD1J], 13                // scale StrideD *= numRows(13) * bpe
s_add_u32  s[sgprSrdD+0], s[sgprSrdD+0], s54       // incToNextRow: gra SRD += inc(lower)
s_addc_u32  s[sgprSrdD+1], s[sgprSrdD+1], 0        // incToNextRow: gra SRD += inc(upper)
_buffer_store_b32 v112, v11, s[sgprSrdD:sgprSrdD+3], 0, offen, offset:0,  sc0 sc1 // store D
v_cmp_class_f32 s[54:55], v[vgprValuC+116], v10    // check NaN and +/-INF
v_med3_f32 v6, v[vgprValuC+116], v8, v9            // Clipping f32 value if exceeds the limit
v_cndmask_b32 v6, v6, v[vgprValuC+116], s[54:55]   // 
v_cmp_class_f32 s[54:55], v[vgprValuC+117], v10    // check NaN and +/-INF
v_med3_f32 v7, v[vgprValuC+117], v8, v9            // Clipping f32 value if exceeds the limit
v_cndmask_b32 v7, v7, v[vgprValuC+117], s[54:55]   // 
v_cvt_pk_bf8_f32  v116, v6, v7 op_sel:[0,0,0]      // convert two f32 accumulated values to fp8 and save it to lo_16[0:15]
v_cmp_class_f32 s[54:55], v[vgprValuC+118], v10    // check NaN and +/-INF
v_med3_f32 v6, v[vgprValuC+118], v8, v9            // Clipping f32 value if exceeds the limit
v_cndmask_b32 v6, v6, v[vgprValuC+118], s[54:55]   // 
v_cmp_class_f32 s[54:55], v[vgprValuC+119], v10    // check NaN and +/-INF
v_med3_f32 v7, v[vgprValuC+119], v8, v9            // Clipping f32 value if exceeds the limit
v_cndmask_b32 v7, v7, v[vgprValuC+119], s[54:55]   // 
v_cvt_pk_bf8_f32  v116, v6, v7 op_sel:[0,0,1]      // convert two f32 accumulated values to fp8 and save it to hi_16[16:31]
s_lshl_b32  s54, s[sgprStrideD1J], 0               // incToNextRow: Scale by BPE
s_add_u32  s[sgprSrdD+0], s[sgprSrdD+0], s54       // incToNextRow: gra SRD += inc(lower)
s_addc_u32  s[sgprSrdD+1], s[sgprSrdD+1], 0        // incToNextRow: gra SRD += inc(upper)
_buffer_store_b32 v116, v11, s[sgprSrdD:sgprSrdD+3], 0, offen, offset:0,  sc0 sc1 // store D
v_cmp_class_f32 s[54:55], v[vgprValuC+120], v10    // check NaN and +/-INF
v_med3_f32 v6, v[vgprValuC+120], v8, v9            // Clipping f32 value if exceeds the limit
v_cndmask_b32 v6, v6, v[vgprValuC+120], s[54:55]   // 
v_cmp_class_f32 s[54:55], v[vgprValuC+121], v10    // check NaN and +/-INF
v_med3_f32 v7, v[vgprValuC+121], v8, v9            // Clipping f32 value if exceeds the limit
v_cndmask_b32 v7, v7, v[vgprValuC+121], s[54:55]   // 
v_cvt_pk_bf8_f32  v120, v6, v7 op_sel:[0,0,0]      // convert two f32 accumulated values to fp8 and save it to lo_16[0:15]
v_cmp_class_f32 s[54:55], v[vgprValuC+122], v10    // check NaN and +/-INF
v_med3_f32 v6, v[vgprValuC+122], v8, v9            // Clipping f32 value if exceeds the limit
v_cndmask_b32 v6, v6, v[vgprValuC+122], s[54:55]   // 
v_cmp_class_f32 s[54:55], v[vgprValuC+123], v10    // check NaN and +/-INF
v_med3_f32 v7, v[vgprValuC+123], v8, v9            // Clipping f32 value if exceeds the limit
v_cndmask_b32 v7, v7, v[vgprValuC+123], s[54:55]   // 
v_cvt_pk_bf8_f32  v120, v6, v7 op_sel:[0,0,1]      // convert two f32 accumulated values to fp8 and save it to hi_16[16:31]
s_lshl_b32  s54, s[sgprStrideD1J], 0               // incToNextRow: Scale by BPE
	;; [unrolled: 18-line block ×3, first 2 shown]
s_add_u32  s[sgprSrdD+0], s[sgprSrdD+0], s54       // incToNextRow: gra SRD += inc(lower)
s_addc_u32  s[sgprSrdD+1], s[sgprSrdD+1], 0        // incToNextRow: gra SRD += inc(upper)
_buffer_store_b32 v128, v11, s[sgprSrdD:sgprSrdD+3], 0, offen, offset:0,  sc0 sc1 // store D
v_cmp_class_f32 s[54:55], v[vgprValuC+132], v10    // check NaN and +/-INF
v_med3_f32 v6, v[vgprValuC+132], v8, v9            // Clipping f32 value if exceeds the limit
v_cndmask_b32 v6, v6, v[vgprValuC+132], s[54:55]   // 
v_cmp_class_f32 s[54:55], v[vgprValuC+133], v10    // check NaN and +/-INF
v_med3_f32 v7, v[vgprValuC+133], v8, v9            // Clipping f32 value if exceeds the limit
v_cndmask_b32 v7, v7, v[vgprValuC+133], s[54:55]   // 
v_cvt_pk_bf8_f32  v132, v6, v7 op_sel:[0,0,0]      // convert two f32 accumulated values to fp8 and save it to lo_16[0:15]
v_cmp_class_f32 s[54:55], v[vgprValuC+134], v10    // check NaN and +/-INF
v_med3_f32 v6, v[vgprValuC+134], v8, v9            // Clipping f32 value if exceeds the limit
v_cndmask_b32 v6, v6, v[vgprValuC+134], s[54:55]   // 
v_cmp_class_f32 s[54:55], v[vgprValuC+135], v10    // check NaN and +/-INF
v_med3_f32 v7, v[vgprValuC+135], v8, v9            // Clipping f32 value if exceeds the limit
v_cndmask_b32 v7, v7, v[vgprValuC+135], s[54:55]   // 
v_cvt_pk_bf8_f32  v132, v6, v7 op_sel:[0,0,1]      // convert two f32 accumulated values to fp8 and save it to hi_16[16:31]
s_mul_i32 s54, s[sgprStrideD1J], 13                // scale StrideD *= numRows(13) * bpe
s_add_u32  s[sgprSrdD+0], s[sgprSrdD+0], s54       // incToNextRow: gra SRD += inc(lower)
s_addc_u32  s[sgprSrdD+1], s[sgprSrdD+1], 0        // incToNextRow: gra SRD += inc(upper)
_buffer_store_b32 v132, v11, s[sgprSrdD:sgprSrdD+3], 0, offen, offset:0,  sc0 sc1 // store D
v_cmp_class_f32 s[54:55], v[vgprValuC+136], v10    // check NaN and +/-INF
v_med3_f32 v6, v[vgprValuC+136], v8, v9            // Clipping f32 value if exceeds the limit
v_cndmask_b32 v6, v6, v[vgprValuC+136], s[54:55]   // 
v_cmp_class_f32 s[54:55], v[vgprValuC+137], v10    // check NaN and +/-INF
v_med3_f32 v7, v[vgprValuC+137], v8, v9            // Clipping f32 value if exceeds the limit
v_cndmask_b32 v7, v7, v[vgprValuC+137], s[54:55]   // 
v_cvt_pk_bf8_f32  v136, v6, v7 op_sel:[0,0,0]      // convert two f32 accumulated values to fp8 and save it to lo_16[0:15]
v_cmp_class_f32 s[54:55], v[vgprValuC+138], v10    // check NaN and +/-INF
v_med3_f32 v6, v[vgprValuC+138], v8, v9            // Clipping f32 value if exceeds the limit
v_cndmask_b32 v6, v6, v[vgprValuC+138], s[54:55]   // 
v_cmp_class_f32 s[54:55], v[vgprValuC+139], v10    // check NaN and +/-INF
v_med3_f32 v7, v[vgprValuC+139], v8, v9            // Clipping f32 value if exceeds the limit
v_cndmask_b32 v7, v7, v[vgprValuC+139], s[54:55]   // 
v_cvt_pk_bf8_f32  v136, v6, v7 op_sel:[0,0,1]      // convert two f32 accumulated values to fp8 and save it to hi_16[16:31]
s_lshl_b32  s54, s[sgprStrideD1J], 0               // incToNextRow: Scale by BPE
s_add_u32  s[sgprSrdD+0], s[sgprSrdD+0], s54       // incToNextRow: gra SRD += inc(lower)
s_addc_u32  s[sgprSrdD+1], s[sgprSrdD+1], 0        // incToNextRow: gra SRD += inc(upper)
_buffer_store_b32 v136, v11, s[sgprSrdD:sgprSrdD+3], 0, offen, offset:0,  sc0 sc1 // store D
v_cmp_class_f32 s[54:55], v[vgprValuC+140], v10    // check NaN and +/-INF
v_med3_f32 v6, v[vgprValuC+140], v8, v9            // Clipping f32 value if exceeds the limit
v_cndmask_b32 v6, v6, v[vgprValuC+140], s[54:55]   // 
v_cmp_class_f32 s[54:55], v[vgprValuC+141], v10    // check NaN and +/-INF
v_med3_f32 v7, v[vgprValuC+141], v8, v9            // Clipping f32 value if exceeds the limit
v_cndmask_b32 v7, v7, v[vgprValuC+141], s[54:55]   // 
v_cvt_pk_bf8_f32  v140, v6, v7 op_sel:[0,0,0]      // convert two f32 accumulated values to fp8 and save it to lo_16[0:15]
v_cmp_class_f32 s[54:55], v[vgprValuC+142], v10    // check NaN and +/-INF
v_med3_f32 v6, v[vgprValuC+142], v8, v9            // Clipping f32 value if exceeds the limit
v_cndmask_b32 v6, v6, v[vgprValuC+142], s[54:55]   // 
v_cmp_class_f32 s[54:55], v[vgprValuC+143], v10    // check NaN and +/-INF
v_med3_f32 v7, v[vgprValuC+143], v8, v9            // Clipping f32 value if exceeds the limit
v_cndmask_b32 v7, v7, v[vgprValuC+143], s[54:55]   // 
v_cvt_pk_bf8_f32  v140, v6, v7 op_sel:[0,0,1]      // convert two f32 accumulated values to fp8 and save it to hi_16[16:31]
s_lshl_b32  s54, s[sgprStrideD1J], 0               // incToNextRow: Scale by BPE
	;; [unrolled: 18-line block ×3, first 2 shown]
s_add_u32  s[sgprSrdD+0], s[sgprSrdD+0], s54       // incToNextRow: gra SRD += inc(lower)
s_addc_u32  s[sgprSrdD+1], s[sgprSrdD+1], 0        // incToNextRow: gra SRD += inc(upper)
_buffer_store_b32 v144, v11, s[sgprSrdD:sgprSrdD+3], 0, offen, offset:0,  sc0 sc1 // store D
v_cmp_class_f32 s[54:55], v[vgprValuC+148], v10    // check NaN and +/-INF
v_med3_f32 v6, v[vgprValuC+148], v8, v9            // Clipping f32 value if exceeds the limit
v_cndmask_b32 v6, v6, v[vgprValuC+148], s[54:55]   // 
v_cmp_class_f32 s[54:55], v[vgprValuC+149], v10    // check NaN and +/-INF
v_med3_f32 v7, v[vgprValuC+149], v8, v9            // Clipping f32 value if exceeds the limit
v_cndmask_b32 v7, v7, v[vgprValuC+149], s[54:55]   // 
v_cvt_pk_bf8_f32  v148, v6, v7 op_sel:[0,0,0]      // convert two f32 accumulated values to fp8 and save it to lo_16[0:15]
v_cmp_class_f32 s[54:55], v[vgprValuC+150], v10    // check NaN and +/-INF
v_med3_f32 v6, v[vgprValuC+150], v8, v9            // Clipping f32 value if exceeds the limit
v_cndmask_b32 v6, v6, v[vgprValuC+150], s[54:55]   // 
v_cmp_class_f32 s[54:55], v[vgprValuC+151], v10    // check NaN and +/-INF
v_med3_f32 v7, v[vgprValuC+151], v8, v9            // Clipping f32 value if exceeds the limit
v_cndmask_b32 v7, v7, v[vgprValuC+151], s[54:55]   // 
v_cvt_pk_bf8_f32  v148, v6, v7 op_sel:[0,0,1]      // convert two f32 accumulated values to fp8 and save it to hi_16[16:31]
s_mul_i32 s54, s[sgprStrideD1J], 13                // scale StrideD *= numRows(13) * bpe
s_add_u32  s[sgprSrdD+0], s[sgprSrdD+0], s54       // incToNextRow: gra SRD += inc(lower)
s_addc_u32  s[sgprSrdD+1], s[sgprSrdD+1], 0        // incToNextRow: gra SRD += inc(upper)
_buffer_store_b32 v148, v11, s[sgprSrdD:sgprSrdD+3], 0, offen, offset:0,  sc0 sc1 // store D
v_cmp_class_f32 s[54:55], v[vgprValuC+152], v10    // check NaN and +/-INF
v_med3_f32 v6, v[vgprValuC+152], v8, v9            // Clipping f32 value if exceeds the limit
v_cndmask_b32 v6, v6, v[vgprValuC+152], s[54:55]   // 
v_cmp_class_f32 s[54:55], v[vgprValuC+153], v10    // check NaN and +/-INF
v_med3_f32 v7, v[vgprValuC+153], v8, v9            // Clipping f32 value if exceeds the limit
v_cndmask_b32 v7, v7, v[vgprValuC+153], s[54:55]   // 
v_cvt_pk_bf8_f32  v152, v6, v7 op_sel:[0,0,0]      // convert two f32 accumulated values to fp8 and save it to lo_16[0:15]
v_cmp_class_f32 s[54:55], v[vgprValuC+154], v10    // check NaN and +/-INF
v_med3_f32 v6, v[vgprValuC+154], v8, v9            // Clipping f32 value if exceeds the limit
v_cndmask_b32 v6, v6, v[vgprValuC+154], s[54:55]   // 
v_cmp_class_f32 s[54:55], v[vgprValuC+155], v10    // check NaN and +/-INF
v_med3_f32 v7, v[vgprValuC+155], v8, v9            // Clipping f32 value if exceeds the limit
v_cndmask_b32 v7, v7, v[vgprValuC+155], s[54:55]   // 
v_cvt_pk_bf8_f32  v152, v6, v7 op_sel:[0,0,1]      // convert two f32 accumulated values to fp8 and save it to hi_16[16:31]
s_lshl_b32  s54, s[sgprStrideD1J], 0               // incToNextRow: Scale by BPE
s_add_u32  s[sgprSrdD+0], s[sgprSrdD+0], s54       // incToNextRow: gra SRD += inc(lower)
s_addc_u32  s[sgprSrdD+1], s[sgprSrdD+1], 0        // incToNextRow: gra SRD += inc(upper)
_buffer_store_b32 v152, v11, s[sgprSrdD:sgprSrdD+3], 0, offen, offset:0,  sc0 sc1 // store D
v_cmp_class_f32 s[54:55], v[vgprValuC+156], v10    // check NaN and +/-INF
v_med3_f32 v6, v[vgprValuC+156], v8, v9            // Clipping f32 value if exceeds the limit
v_cndmask_b32 v6, v6, v[vgprValuC+156], s[54:55]   // 
v_cmp_class_f32 s[54:55], v[vgprValuC+157], v10    // check NaN and +/-INF
v_med3_f32 v7, v[vgprValuC+157], v8, v9            // Clipping f32 value if exceeds the limit
v_cndmask_b32 v7, v7, v[vgprValuC+157], s[54:55]   // 
v_cvt_pk_bf8_f32  v156, v6, v7 op_sel:[0,0,0]      // convert two f32 accumulated values to fp8 and save it to lo_16[0:15]
v_cmp_class_f32 s[54:55], v[vgprValuC+158], v10    // check NaN and +/-INF
v_med3_f32 v6, v[vgprValuC+158], v8, v9            // Clipping f32 value if exceeds the limit
v_cndmask_b32 v6, v6, v[vgprValuC+158], s[54:55]   // 
v_cmp_class_f32 s[54:55], v[vgprValuC+159], v10    // check NaN and +/-INF
v_med3_f32 v7, v[vgprValuC+159], v8, v9            // Clipping f32 value if exceeds the limit
v_cndmask_b32 v7, v7, v[vgprValuC+159], s[54:55]   // 
v_cvt_pk_bf8_f32  v156, v6, v7 op_sel:[0,0,1]      // convert two f32 accumulated values to fp8 and save it to hi_16[16:31]
s_lshl_b32  s54, s[sgprStrideD1J], 0               // incToNextRow: Scale by BPE
	;; [unrolled: 18-line block ×3, first 2 shown]
s_add_u32  s[sgprSrdD+0], s[sgprSrdD+0], s54       // incToNextRow: gra SRD += inc(lower)
s_addc_u32  s[sgprSrdD+1], s[sgprSrdD+1], 0        // incToNextRow: gra SRD += inc(upper)
_buffer_store_b32 v160, v11, s[sgprSrdD:sgprSrdD+3], 0, offen, offset:0,  sc0 sc1 // store D
v_cmp_class_f32 s[54:55], v[vgprValuC+164], v10    // check NaN and +/-INF
v_med3_f32 v6, v[vgprValuC+164], v8, v9            // Clipping f32 value if exceeds the limit
v_cndmask_b32 v6, v6, v[vgprValuC+164], s[54:55]   // 
v_cmp_class_f32 s[54:55], v[vgprValuC+165], v10    // check NaN and +/-INF
v_med3_f32 v7, v[vgprValuC+165], v8, v9            // Clipping f32 value if exceeds the limit
v_cndmask_b32 v7, v7, v[vgprValuC+165], s[54:55]   // 
v_cvt_pk_bf8_f32  v164, v6, v7 op_sel:[0,0,0]      // convert two f32 accumulated values to fp8 and save it to lo_16[0:15]
v_cmp_class_f32 s[54:55], v[vgprValuC+166], v10    // check NaN and +/-INF
v_med3_f32 v6, v[vgprValuC+166], v8, v9            // Clipping f32 value if exceeds the limit
v_cndmask_b32 v6, v6, v[vgprValuC+166], s[54:55]   // 
v_cmp_class_f32 s[54:55], v[vgprValuC+167], v10    // check NaN and +/-INF
v_med3_f32 v7, v[vgprValuC+167], v8, v9            // Clipping f32 value if exceeds the limit
v_cndmask_b32 v7, v7, v[vgprValuC+167], s[54:55]   // 
v_cvt_pk_bf8_f32  v164, v6, v7 op_sel:[0,0,1]      // convert two f32 accumulated values to fp8 and save it to hi_16[16:31]
s_mul_i32 s54, s[sgprStrideD1J], 13                // scale StrideD *= numRows(13) * bpe
s_add_u32  s[sgprSrdD+0], s[sgprSrdD+0], s54       // incToNextRow: gra SRD += inc(lower)
s_addc_u32  s[sgprSrdD+1], s[sgprSrdD+1], 0        // incToNextRow: gra SRD += inc(upper)
_buffer_store_b32 v164, v11, s[sgprSrdD:sgprSrdD+3], 0, offen, offset:0,  sc0 sc1 // store D
v_cmp_class_f32 s[54:55], v[vgprValuC+168], v10    // check NaN and +/-INF
v_med3_f32 v6, v[vgprValuC+168], v8, v9            // Clipping f32 value if exceeds the limit
v_cndmask_b32 v6, v6, v[vgprValuC+168], s[54:55]   // 
v_cmp_class_f32 s[54:55], v[vgprValuC+169], v10    // check NaN and +/-INF
v_med3_f32 v7, v[vgprValuC+169], v8, v9            // Clipping f32 value if exceeds the limit
v_cndmask_b32 v7, v7, v[vgprValuC+169], s[54:55]   // 
v_cvt_pk_bf8_f32  v168, v6, v7 op_sel:[0,0,0]      // convert two f32 accumulated values to fp8 and save it to lo_16[0:15]
v_cmp_class_f32 s[54:55], v[vgprValuC+170], v10    // check NaN and +/-INF
v_med3_f32 v6, v[vgprValuC+170], v8, v9            // Clipping f32 value if exceeds the limit
v_cndmask_b32 v6, v6, v[vgprValuC+170], s[54:55]   // 
v_cmp_class_f32 s[54:55], v[vgprValuC+171], v10    // check NaN and +/-INF
v_med3_f32 v7, v[vgprValuC+171], v8, v9            // Clipping f32 value if exceeds the limit
v_cndmask_b32 v7, v7, v[vgprValuC+171], s[54:55]   // 
v_cvt_pk_bf8_f32  v168, v6, v7 op_sel:[0,0,1]      // convert two f32 accumulated values to fp8 and save it to hi_16[16:31]
s_lshl_b32  s54, s[sgprStrideD1J], 0               // incToNextRow: Scale by BPE
s_add_u32  s[sgprSrdD+0], s[sgprSrdD+0], s54       // incToNextRow: gra SRD += inc(lower)
s_addc_u32  s[sgprSrdD+1], s[sgprSrdD+1], 0        // incToNextRow: gra SRD += inc(upper)
_buffer_store_b32 v168, v11, s[sgprSrdD:sgprSrdD+3], 0, offen, offset:0,  sc0 sc1 // store D
v_cmp_class_f32 s[54:55], v[vgprValuC+172], v10    // check NaN and +/-INF
v_med3_f32 v6, v[vgprValuC+172], v8, v9            // Clipping f32 value if exceeds the limit
v_cndmask_b32 v6, v6, v[vgprValuC+172], s[54:55]   // 
v_cmp_class_f32 s[54:55], v[vgprValuC+173], v10    // check NaN and +/-INF
v_med3_f32 v7, v[vgprValuC+173], v8, v9            // Clipping f32 value if exceeds the limit
v_cndmask_b32 v7, v7, v[vgprValuC+173], s[54:55]   // 
v_cvt_pk_bf8_f32  v172, v6, v7 op_sel:[0,0,0]      // convert two f32 accumulated values to fp8 and save it to lo_16[0:15]
v_cmp_class_f32 s[54:55], v[vgprValuC+174], v10    // check NaN and +/-INF
v_med3_f32 v6, v[vgprValuC+174], v8, v9            // Clipping f32 value if exceeds the limit
v_cndmask_b32 v6, v6, v[vgprValuC+174], s[54:55]   // 
v_cmp_class_f32 s[54:55], v[vgprValuC+175], v10    // check NaN and +/-INF
v_med3_f32 v7, v[vgprValuC+175], v8, v9            // Clipping f32 value if exceeds the limit
v_cndmask_b32 v7, v7, v[vgprValuC+175], s[54:55]   // 
v_cvt_pk_bf8_f32  v172, v6, v7 op_sel:[0,0,1]      // convert two f32 accumulated values to fp8 and save it to hi_16[16:31]
s_lshl_b32  s54, s[sgprStrideD1J], 0               // incToNextRow: Scale by BPE
s_add_u32  s[sgprSrdD+0], s[sgprSrdD+0], s54       // incToNextRow: gra SRD += inc(lower)
s_addc_u32  s[sgprSrdD+1], s[sgprSrdD+1], 0        // incToNextRow: gra SRD += inc(upper)
_buffer_store_b32 v172, v11, s[sgprSrdD:sgprSrdD+3], 0, offen, offset:0,  sc0 sc1 // store D
v_cmp_class_f32 s[54:55], v[vgprValuC+176], v10    // check NaN and +/-INF
v_med3_f32 v6, v[vgprValuC+176], v8, v9            // Clipping f32 value if exceeds the limit
v_cndmask_b32 v6, v6, v[vgprValuC+176], s[54:55]   // 
v_cmp_class_f32 s[54:55], v[vgprValuC+177], v10    // check NaN and +/-INF
v_med3_f32 v7, v[vgprValuC+177], v8, v9            // Clipping f32 value if exceeds the limit
v_cndmask_b32 v7, v7, v[vgprValuC+177], s[54:55]   // 
v_cvt_pk_bf8_f32  v176, v6, v7 op_sel:[0,0,0]      // convert two f32 accumulated values to fp8 and save it to lo_16[0:15]
v_cmp_class_f32 s[54:55], v[vgprValuC+178], v10    // check NaN and +/-INF
v_med3_f32 v6, v[vgprValuC+178], v8, v9            // Clipping f32 value if exceeds the limit
v_cndmask_b32 v6, v6, v[vgprValuC+178], s[54:55]   // 
v_cmp_class_f32 s[54:55], v[vgprValuC+179], v10    // check NaN and +/-INF
v_med3_f32 v7, v[vgprValuC+179], v8, v9            // Clipping f32 value if exceeds the limit
v_cndmask_b32 v7, v7, v[vgprValuC+179], s[54:55]   // 
v_cvt_pk_bf8_f32  v176, v6, v7 op_sel:[0,0,1]      // convert two f32 accumulated values to fp8 and save it to hi_16[16:31]
s_lshl_b32  s54, s[sgprStrideD1J], 0               // incToNextRow: Scale by BPE
s_add_u32  s[sgprSrdD+0], s[sgprSrdD+0], s54       // incToNextRow: gra SRD += inc(lower)
s_addc_u32  s[sgprSrdD+1], s[sgprSrdD+1], 0        // incToNextRow: gra SRD += inc(upper)
_buffer_store_b32 v176, v11, s[sgprSrdD:sgprSrdD+3], 0, offen, offset:0,  sc0 sc1 // store D
v_cmp_class_f32 s[54:55], v[vgprValuC+180], v10    // check NaN and +/-INF
v_med3_f32 v6, v[vgprValuC+180], v8, v9            // Clipping f32 value if exceeds the limit
v_cndmask_b32 v6, v6, v[vgprValuC+180], s[54:55]   // 
v_cmp_class_f32 s[54:55], v[vgprValuC+181], v10    // check NaN and +/-INF
v_med3_f32 v7, v[vgprValuC+181], v8, v9            // Clipping f32 value if exceeds the limit
v_cndmask_b32 v7, v7, v[vgprValuC+181], s[54:55]   // 
v_cvt_pk_bf8_f32  v180, v6, v7 op_sel:[0,0,0]      // convert two f32 accumulated values to fp8 and save it to lo_16[0:15]
v_cmp_class_f32 s[54:55], v[vgprValuC+182], v10    // check NaN and +/-INF
v_med3_f32 v6, v[vgprValuC+182], v8, v9            // Clipping f32 value if exceeds the limit
v_cndmask_b32 v6, v6, v[vgprValuC+182], s[54:55]   // 
v_cmp_class_f32 s[54:55], v[vgprValuC+183], v10    // check NaN and +/-INF
v_med3_f32 v7, v[vgprValuC+183], v8, v9            // Clipping f32 value if exceeds the limit
v_cndmask_b32 v7, v7, v[vgprValuC+183], s[54:55]   // 
v_cvt_pk_bf8_f32  v180, v6, v7 op_sel:[0,0,1]      // convert two f32 accumulated values to fp8 and save it to hi_16[16:31]
s_mul_i32 s54, s[sgprStrideD1J], 13                // scale StrideD *= numRows(13) * bpe
s_add_u32  s[sgprSrdD+0], s[sgprSrdD+0], s54       // incToNextRow: gra SRD += inc(lower)
s_addc_u32  s[sgprSrdD+1], s[sgprSrdD+1], 0        // incToNextRow: gra SRD += inc(upper)
_buffer_store_b32 v180, v11, s[sgprSrdD:sgprSrdD+3], 0, offen, offset:0,  sc0 sc1 // store D
v_cmp_class_f32 s[54:55], v[vgprValuC+184], v10    // check NaN and +/-INF
v_med3_f32 v6, v[vgprValuC+184], v8, v9            // Clipping f32 value if exceeds the limit
v_cndmask_b32 v6, v6, v[vgprValuC+184], s[54:55]   // 
v_cmp_class_f32 s[54:55], v[vgprValuC+185], v10    // check NaN and +/-INF
v_med3_f32 v7, v[vgprValuC+185], v8, v9            // Clipping f32 value if exceeds the limit
v_cndmask_b32 v7, v7, v[vgprValuC+185], s[54:55]   // 
v_cvt_pk_bf8_f32  v184, v6, v7 op_sel:[0,0,0]      // convert two f32 accumulated values to fp8 and save it to lo_16[0:15]
v_cmp_class_f32 s[54:55], v[vgprValuC+186], v10    // check NaN and +/-INF
v_med3_f32 v6, v[vgprValuC+186], v8, v9            // Clipping f32 value if exceeds the limit
v_cndmask_b32 v6, v6, v[vgprValuC+186], s[54:55]   // 
v_cmp_class_f32 s[54:55], v[vgprValuC+187], v10    // check NaN and +/-INF
v_med3_f32 v7, v[vgprValuC+187], v8, v9            // Clipping f32 value if exceeds the limit
v_cndmask_b32 v7, v7, v[vgprValuC+187], s[54:55]   // 
v_cvt_pk_bf8_f32  v184, v6, v7 op_sel:[0,0,1]      // convert two f32 accumulated values to fp8 and save it to hi_16[16:31]
s_lshl_b32  s54, s[sgprStrideD1J], 0               // incToNextRow: Scale by BPE
s_add_u32  s[sgprSrdD+0], s[sgprSrdD+0], s54       // incToNextRow: gra SRD += inc(lower)
s_addc_u32  s[sgprSrdD+1], s[sgprSrdD+1], 0        // incToNextRow: gra SRD += inc(upper)
_buffer_store_b32 v184, v11, s[sgprSrdD:sgprSrdD+3], 0, offen, offset:0,  sc0 sc1 // store D
v_cmp_class_f32 s[54:55], v[vgprValuC+188], v10    // check NaN and +/-INF
v_med3_f32 v6, v[vgprValuC+188], v8, v9            // Clipping f32 value if exceeds the limit
v_cndmask_b32 v6, v6, v[vgprValuC+188], s[54:55]   // 
v_cmp_class_f32 s[54:55], v[vgprValuC+189], v10    // check NaN and +/-INF
v_med3_f32 v7, v[vgprValuC+189], v8, v9            // Clipping f32 value if exceeds the limit
v_cndmask_b32 v7, v7, v[vgprValuC+189], s[54:55]   // 
v_cvt_pk_bf8_f32  v188, v6, v7 op_sel:[0,0,0]      // convert two f32 accumulated values to fp8 and save it to lo_16[0:15]
v_cmp_class_f32 s[54:55], v[vgprValuC+190], v10    // check NaN and +/-INF
v_med3_f32 v6, v[vgprValuC+190], v8, v9            // Clipping f32 value if exceeds the limit
v_cndmask_b32 v6, v6, v[vgprValuC+190], s[54:55]   // 
v_cmp_class_f32 s[54:55], v[vgprValuC+191], v10    // check NaN and +/-INF
v_med3_f32 v7, v[vgprValuC+191], v8, v9            // Clipping f32 value if exceeds the limit
v_cndmask_b32 v7, v7, v[vgprValuC+191], s[54:55]   // 
v_cvt_pk_bf8_f32  v188, v6, v7 op_sel:[0,0,1]      // convert two f32 accumulated values to fp8 and save it to hi_16[16:31]
s_lshl_b32  s54, s[sgprStrideD1J], 0               // incToNextRow: Scale by BPE
	;; [unrolled: 18-line block ×3, first 2 shown]
s_add_u32  s[sgprSrdD+0], s[sgprSrdD+0], s54       // incToNextRow: gra SRD += inc(lower)
s_addc_u32  s[sgprSrdD+1], s[sgprSrdD+1], 0        // incToNextRow: gra SRD += inc(upper)
_buffer_store_b32 v192, v11, s[sgprSrdD:sgprSrdD+3], 0, offen, offset:0,  sc0 sc1 // store D
v_cmp_class_f32 s[54:55], v[vgprValuC+196], v10    // check NaN and +/-INF
v_med3_f32 v6, v[vgprValuC+196], v8, v9            // Clipping f32 value if exceeds the limit
v_cndmask_b32 v6, v6, v[vgprValuC+196], s[54:55]   // 
v_cmp_class_f32 s[54:55], v[vgprValuC+197], v10    // check NaN and +/-INF
v_med3_f32 v7, v[vgprValuC+197], v8, v9            // Clipping f32 value if exceeds the limit
v_cndmask_b32 v7, v7, v[vgprValuC+197], s[54:55]   // 
v_cvt_pk_bf8_f32  v196, v6, v7 op_sel:[0,0,0]      // convert two f32 accumulated values to fp8 and save it to lo_16[0:15]
v_cmp_class_f32 s[54:55], v[vgprValuC+198], v10    // check NaN and +/-INF
v_med3_f32 v6, v[vgprValuC+198], v8, v9            // Clipping f32 value if exceeds the limit
v_cndmask_b32 v6, v6, v[vgprValuC+198], s[54:55]   // 
v_cmp_class_f32 s[54:55], v[vgprValuC+199], v10    // check NaN and +/-INF
v_med3_f32 v7, v[vgprValuC+199], v8, v9            // Clipping f32 value if exceeds the limit
v_cndmask_b32 v7, v7, v[vgprValuC+199], s[54:55]   // 
v_cvt_pk_bf8_f32  v196, v6, v7 op_sel:[0,0,1]      // convert two f32 accumulated values to fp8 and save it to hi_16[16:31]
s_mul_i32 s54, s[sgprStrideD1J], 13                // scale StrideD *= numRows(13) * bpe
s_add_u32  s[sgprSrdD+0], s[sgprSrdD+0], s54       // incToNextRow: gra SRD += inc(lower)
s_addc_u32  s[sgprSrdD+1], s[sgprSrdD+1], 0        // incToNextRow: gra SRD += inc(upper)
_buffer_store_b32 v196, v11, s[sgprSrdD:sgprSrdD+3], 0, offen, offset:0,  sc0 sc1 // store D
v_cmp_class_f32 s[54:55], v[vgprValuC+200], v10    // check NaN and +/-INF
v_med3_f32 v6, v[vgprValuC+200], v8, v9            // Clipping f32 value if exceeds the limit
v_cndmask_b32 v6, v6, v[vgprValuC+200], s[54:55]   // 
v_cmp_class_f32 s[54:55], v[vgprValuC+201], v10    // check NaN and +/-INF
v_med3_f32 v7, v[vgprValuC+201], v8, v9            // Clipping f32 value if exceeds the limit
v_cndmask_b32 v7, v7, v[vgprValuC+201], s[54:55]   // 
v_cvt_pk_bf8_f32  v200, v6, v7 op_sel:[0,0,0]      // convert two f32 accumulated values to fp8 and save it to lo_16[0:15]
v_cmp_class_f32 s[54:55], v[vgprValuC+202], v10    // check NaN and +/-INF
v_med3_f32 v6, v[vgprValuC+202], v8, v9            // Clipping f32 value if exceeds the limit
v_cndmask_b32 v6, v6, v[vgprValuC+202], s[54:55]   // 
v_cmp_class_f32 s[54:55], v[vgprValuC+203], v10    // check NaN and +/-INF
v_med3_f32 v7, v[vgprValuC+203], v8, v9            // Clipping f32 value if exceeds the limit
v_cndmask_b32 v7, v7, v[vgprValuC+203], s[54:55]   // 
v_cvt_pk_bf8_f32  v200, v6, v7 op_sel:[0,0,1]      // convert two f32 accumulated values to fp8 and save it to hi_16[16:31]
s_lshl_b32  s54, s[sgprStrideD1J], 0               // incToNextRow: Scale by BPE
s_add_u32  s[sgprSrdD+0], s[sgprSrdD+0], s54       // incToNextRow: gra SRD += inc(lower)
s_addc_u32  s[sgprSrdD+1], s[sgprSrdD+1], 0        // incToNextRow: gra SRD += inc(upper)
_buffer_store_b32 v200, v11, s[sgprSrdD:sgprSrdD+3], 0, offen, offset:0,  sc0 sc1 // store D
v_cmp_class_f32 s[54:55], v[vgprValuC+204], v10    // check NaN and +/-INF
v_med3_f32 v6, v[vgprValuC+204], v8, v9            // Clipping f32 value if exceeds the limit
v_cndmask_b32 v6, v6, v[vgprValuC+204], s[54:55]   // 
v_cmp_class_f32 s[54:55], v[vgprValuC+205], v10    // check NaN and +/-INF
v_med3_f32 v7, v[vgprValuC+205], v8, v9            // Clipping f32 value if exceeds the limit
v_cndmask_b32 v7, v7, v[vgprValuC+205], s[54:55]   // 
v_cvt_pk_bf8_f32  v204, v6, v7 op_sel:[0,0,0]      // convert two f32 accumulated values to fp8 and save it to lo_16[0:15]
v_cmp_class_f32 s[54:55], v[vgprValuC+206], v10    // check NaN and +/-INF
v_med3_f32 v6, v[vgprValuC+206], v8, v9            // Clipping f32 value if exceeds the limit
v_cndmask_b32 v6, v6, v[vgprValuC+206], s[54:55]   // 
v_cmp_class_f32 s[54:55], v[vgprValuC+207], v10    // check NaN and +/-INF
v_med3_f32 v7, v[vgprValuC+207], v8, v9            // Clipping f32 value if exceeds the limit
v_cndmask_b32 v7, v7, v[vgprValuC+207], s[54:55]   // 
v_cvt_pk_bf8_f32  v204, v6, v7 op_sel:[0,0,1]      // convert two f32 accumulated values to fp8 and save it to hi_16[16:31]
s_lshl_b32  s54, s[sgprStrideD1J], 0               // incToNextRow: Scale by BPE
	;; [unrolled: 18-line block ×3, first 2 shown]
s_add_u32  s[sgprSrdD+0], s[sgprSrdD+0], s54       // incToNextRow: gra SRD += inc(lower)
s_addc_u32  s[sgprSrdD+1], s[sgprSrdD+1], 0        // incToNextRow: gra SRD += inc(upper)
_buffer_store_b32 v208, v11, s[sgprSrdD:sgprSrdD+3], 0, offen, offset:0,  sc0 sc1 // store D
v_cmp_class_f32 s[54:55], v[vgprValuC+212], v10    // check NaN and +/-INF
v_med3_f32 v6, v[vgprValuC+212], v8, v9            // Clipping f32 value if exceeds the limit
v_cndmask_b32 v6, v6, v[vgprValuC+212], s[54:55]   // 
v_cmp_class_f32 s[54:55], v[vgprValuC+213], v10    // check NaN and +/-INF
v_med3_f32 v7, v[vgprValuC+213], v8, v9            // Clipping f32 value if exceeds the limit
v_cndmask_b32 v7, v7, v[vgprValuC+213], s[54:55]   // 
v_cvt_pk_bf8_f32  v212, v6, v7 op_sel:[0,0,0]      // convert two f32 accumulated values to fp8 and save it to lo_16[0:15]
v_cmp_class_f32 s[54:55], v[vgprValuC+214], v10    // check NaN and +/-INF
v_med3_f32 v6, v[vgprValuC+214], v8, v9            // Clipping f32 value if exceeds the limit
v_cndmask_b32 v6, v6, v[vgprValuC+214], s[54:55]   // 
v_cmp_class_f32 s[54:55], v[vgprValuC+215], v10    // check NaN and +/-INF
v_med3_f32 v7, v[vgprValuC+215], v8, v9            // Clipping f32 value if exceeds the limit
v_cndmask_b32 v7, v7, v[vgprValuC+215], s[54:55]   // 
v_cvt_pk_bf8_f32  v212, v6, v7 op_sel:[0,0,1]      // convert two f32 accumulated values to fp8 and save it to hi_16[16:31]
s_mul_i32 s54, s[sgprStrideD1J], 13                // scale StrideD *= numRows(13) * bpe
s_add_u32  s[sgprSrdD+0], s[sgprSrdD+0], s54       // incToNextRow: gra SRD += inc(lower)
s_addc_u32  s[sgprSrdD+1], s[sgprSrdD+1], 0        // incToNextRow: gra SRD += inc(upper)
_buffer_store_b32 v212, v11, s[sgprSrdD:sgprSrdD+3], 0, offen, offset:0,  sc0 sc1 // store D
v_cmp_class_f32 s[54:55], v[vgprValuC+216], v10    // check NaN and +/-INF
v_med3_f32 v6, v[vgprValuC+216], v8, v9            // Clipping f32 value if exceeds the limit
v_cndmask_b32 v6, v6, v[vgprValuC+216], s[54:55]   // 
v_cmp_class_f32 s[54:55], v[vgprValuC+217], v10    // check NaN and +/-INF
v_med3_f32 v7, v[vgprValuC+217], v8, v9            // Clipping f32 value if exceeds the limit
v_cndmask_b32 v7, v7, v[vgprValuC+217], s[54:55]   // 
v_cvt_pk_bf8_f32  v216, v6, v7 op_sel:[0,0,0]      // convert two f32 accumulated values to fp8 and save it to lo_16[0:15]
v_cmp_class_f32 s[54:55], v[vgprValuC+218], v10    // check NaN and +/-INF
v_med3_f32 v6, v[vgprValuC+218], v8, v9            // Clipping f32 value if exceeds the limit
v_cndmask_b32 v6, v6, v[vgprValuC+218], s[54:55]   // 
v_cmp_class_f32 s[54:55], v[vgprValuC+219], v10    // check NaN and +/-INF
v_med3_f32 v7, v[vgprValuC+219], v8, v9            // Clipping f32 value if exceeds the limit
v_cndmask_b32 v7, v7, v[vgprValuC+219], s[54:55]   // 
v_cvt_pk_bf8_f32  v216, v6, v7 op_sel:[0,0,1]      // convert two f32 accumulated values to fp8 and save it to hi_16[16:31]
s_lshl_b32  s54, s[sgprStrideD1J], 0               // incToNextRow: Scale by BPE
s_add_u32  s[sgprSrdD+0], s[sgprSrdD+0], s54       // incToNextRow: gra SRD += inc(lower)
s_addc_u32  s[sgprSrdD+1], s[sgprSrdD+1], 0        // incToNextRow: gra SRD += inc(upper)
_buffer_store_b32 v216, v11, s[sgprSrdD:sgprSrdD+3], 0, offen, offset:0,  sc0 sc1 // store D
v_cmp_class_f32 s[54:55], v[vgprValuC+220], v10    // check NaN and +/-INF
v_med3_f32 v6, v[vgprValuC+220], v8, v9            // Clipping f32 value if exceeds the limit
v_cndmask_b32 v6, v6, v[vgprValuC+220], s[54:55]   // 
v_cmp_class_f32 s[54:55], v[vgprValuC+221], v10    // check NaN and +/-INF
v_med3_f32 v7, v[vgprValuC+221], v8, v9            // Clipping f32 value if exceeds the limit
v_cndmask_b32 v7, v7, v[vgprValuC+221], s[54:55]   // 
v_cvt_pk_bf8_f32  v220, v6, v7 op_sel:[0,0,0]      // convert two f32 accumulated values to fp8 and save it to lo_16[0:15]
v_cmp_class_f32 s[54:55], v[vgprValuC+222], v10    // check NaN and +/-INF
v_med3_f32 v6, v[vgprValuC+222], v8, v9            // Clipping f32 value if exceeds the limit
v_cndmask_b32 v6, v6, v[vgprValuC+222], s[54:55]   // 
v_cmp_class_f32 s[54:55], v[vgprValuC+223], v10    // check NaN and +/-INF
v_med3_f32 v7, v[vgprValuC+223], v8, v9            // Clipping f32 value if exceeds the limit
v_cndmask_b32 v7, v7, v[vgprValuC+223], s[54:55]   // 
v_cvt_pk_bf8_f32  v220, v6, v7 op_sel:[0,0,1]      // convert two f32 accumulated values to fp8 and save it to hi_16[16:31]
s_lshl_b32  s54, s[sgprStrideD1J], 0               // incToNextRow: Scale by BPE
	;; [unrolled: 18-line block ×3, first 2 shown]
s_add_u32  s[sgprSrdD+0], s[sgprSrdD+0], s54       // incToNextRow: gra SRD += inc(lower)
s_addc_u32  s[sgprSrdD+1], s[sgprSrdD+1], 0        // incToNextRow: gra SRD += inc(upper)
_buffer_store_b32 v224, v11, s[sgprSrdD:sgprSrdD+3], 0, offen, offset:0,  sc0 sc1 // store D
v_cmp_class_f32 s[54:55], v[vgprValuC+228], v10    // check NaN and +/-INF
v_med3_f32 v6, v[vgprValuC+228], v8, v9            // Clipping f32 value if exceeds the limit
v_cndmask_b32 v6, v6, v[vgprValuC+228], s[54:55]   // 
v_cmp_class_f32 s[54:55], v[vgprValuC+229], v10    // check NaN and +/-INF
v_med3_f32 v7, v[vgprValuC+229], v8, v9            // Clipping f32 value if exceeds the limit
v_cndmask_b32 v7, v7, v[vgprValuC+229], s[54:55]   // 
v_cvt_pk_bf8_f32  v228, v6, v7 op_sel:[0,0,0]      // convert two f32 accumulated values to fp8 and save it to lo_16[0:15]
v_cmp_class_f32 s[54:55], v[vgprValuC+230], v10    // check NaN and +/-INF
v_med3_f32 v6, v[vgprValuC+230], v8, v9            // Clipping f32 value if exceeds the limit
v_cndmask_b32 v6, v6, v[vgprValuC+230], s[54:55]   // 
v_cmp_class_f32 s[54:55], v[vgprValuC+231], v10    // check NaN and +/-INF
v_med3_f32 v7, v[vgprValuC+231], v8, v9            // Clipping f32 value if exceeds the limit
v_cndmask_b32 v7, v7, v[vgprValuC+231], s[54:55]   // 
v_cvt_pk_bf8_f32  v228, v6, v7 op_sel:[0,0,1]      // convert two f32 accumulated values to fp8 and save it to hi_16[16:31]
s_mul_i32 s54, s[sgprStrideD1J], 13                // scale StrideD *= numRows(13) * bpe
s_add_u32  s[sgprSrdD+0], s[sgprSrdD+0], s54       // incToNextRow: gra SRD += inc(lower)
s_addc_u32  s[sgprSrdD+1], s[sgprSrdD+1], 0        // incToNextRow: gra SRD += inc(upper)
_buffer_store_b32 v228, v11, s[sgprSrdD:sgprSrdD+3], 0, offen, offset:0,  sc0 sc1 // store D
v_cmp_class_f32 s[54:55], v[vgprValuC+232], v10    // check NaN and +/-INF
v_med3_f32 v6, v[vgprValuC+232], v8, v9            // Clipping f32 value if exceeds the limit
v_cndmask_b32 v6, v6, v[vgprValuC+232], s[54:55]   // 
v_cmp_class_f32 s[54:55], v[vgprValuC+233], v10    // check NaN and +/-INF
v_med3_f32 v7, v[vgprValuC+233], v8, v9            // Clipping f32 value if exceeds the limit
v_cndmask_b32 v7, v7, v[vgprValuC+233], s[54:55]   // 
v_cvt_pk_bf8_f32  v232, v6, v7 op_sel:[0,0,0]      // convert two f32 accumulated values to fp8 and save it to lo_16[0:15]
v_cmp_class_f32 s[54:55], v[vgprValuC+234], v10    // check NaN and +/-INF
v_med3_f32 v6, v[vgprValuC+234], v8, v9            // Clipping f32 value if exceeds the limit
v_cndmask_b32 v6, v6, v[vgprValuC+234], s[54:55]   // 
v_cmp_class_f32 s[54:55], v[vgprValuC+235], v10    // check NaN and +/-INF
v_med3_f32 v7, v[vgprValuC+235], v8, v9            // Clipping f32 value if exceeds the limit
v_cndmask_b32 v7, v7, v[vgprValuC+235], s[54:55]   // 
v_cvt_pk_bf8_f32  v232, v6, v7 op_sel:[0,0,1]      // convert two f32 accumulated values to fp8 and save it to hi_16[16:31]
s_lshl_b32  s54, s[sgprStrideD1J], 0               // incToNextRow: Scale by BPE
s_add_u32  s[sgprSrdD+0], s[sgprSrdD+0], s54       // incToNextRow: gra SRD += inc(lower)
s_addc_u32  s[sgprSrdD+1], s[sgprSrdD+1], 0        // incToNextRow: gra SRD += inc(upper)
_buffer_store_b32 v232, v11, s[sgprSrdD:sgprSrdD+3], 0, offen, offset:0,  sc0 sc1 // store D
v_cmp_class_f32 s[54:55], v[vgprValuC+236], v10    // check NaN and +/-INF
v_med3_f32 v6, v[vgprValuC+236], v8, v9            // Clipping f32 value if exceeds the limit
v_cndmask_b32 v6, v6, v[vgprValuC+236], s[54:55]   // 
v_cmp_class_f32 s[54:55], v[vgprValuC+237], v10    // check NaN and +/-INF
v_med3_f32 v7, v[vgprValuC+237], v8, v9            // Clipping f32 value if exceeds the limit
v_cndmask_b32 v7, v7, v[vgprValuC+237], s[54:55]   // 
v_cvt_pk_bf8_f32  v236, v6, v7 op_sel:[0,0,0]      // convert two f32 accumulated values to fp8 and save it to lo_16[0:15]
v_cmp_class_f32 s[54:55], v[vgprValuC+238], v10    // check NaN and +/-INF
v_med3_f32 v6, v[vgprValuC+238], v8, v9            // Clipping f32 value if exceeds the limit
v_cndmask_b32 v6, v6, v[vgprValuC+238], s[54:55]   // 
v_cmp_class_f32 s[54:55], v[vgprValuC+239], v10    // check NaN and +/-INF
v_med3_f32 v7, v[vgprValuC+239], v8, v9            // Clipping f32 value if exceeds the limit
v_cndmask_b32 v7, v7, v[vgprValuC+239], s[54:55]   // 
v_cvt_pk_bf8_f32  v236, v6, v7 op_sel:[0,0,1]      // convert two f32 accumulated values to fp8 and save it to hi_16[16:31]
s_lshl_b32  s54, s[sgprStrideD1J], 0               // incToNextRow: Scale by BPE
	;; [unrolled: 18-line block ×3, first 2 shown]
s_add_u32  s[sgprSrdD+0], s[sgprSrdD+0], s54       // incToNextRow: gra SRD += inc(lower)
s_addc_u32  s[sgprSrdD+1], s[sgprSrdD+1], 0        // incToNextRow: gra SRD += inc(upper)
_buffer_store_b32 v240, v11, s[sgprSrdD:sgprSrdD+3], 0, offen, offset:0,  sc0 sc1 // store D
v_cmp_class_f32 s[54:55], v[vgprValuC+244], v10    // check NaN and +/-INF
v_med3_f32 v6, v[vgprValuC+244], v8, v9            // Clipping f32 value if exceeds the limit
v_cndmask_b32 v6, v6, v[vgprValuC+244], s[54:55]   // 
v_cmp_class_f32 s[54:55], v[vgprValuC+245], v10    // check NaN and +/-INF
v_med3_f32 v7, v[vgprValuC+245], v8, v9            // Clipping f32 value if exceeds the limit
v_cndmask_b32 v7, v7, v[vgprValuC+245], s[54:55]   // 
v_cvt_pk_bf8_f32  v244, v6, v7 op_sel:[0,0,0]      // convert two f32 accumulated values to fp8 and save it to lo_16[0:15]
v_cmp_class_f32 s[54:55], v[vgprValuC+246], v10    // check NaN and +/-INF
v_med3_f32 v6, v[vgprValuC+246], v8, v9            // Clipping f32 value if exceeds the limit
v_cndmask_b32 v6, v6, v[vgprValuC+246], s[54:55]   // 
v_cmp_class_f32 s[54:55], v[vgprValuC+247], v10    // check NaN and +/-INF
v_med3_f32 v7, v[vgprValuC+247], v8, v9            // Clipping f32 value if exceeds the limit
v_cndmask_b32 v7, v7, v[vgprValuC+247], s[54:55]   // 
v_cvt_pk_bf8_f32  v244, v6, v7 op_sel:[0,0,1]      // convert two f32 accumulated values to fp8 and save it to hi_16[16:31]
s_mul_i32 s54, s[sgprStrideD1J], 13                // scale StrideD *= numRows(13) * bpe
s_add_u32  s[sgprSrdD+0], s[sgprSrdD+0], s54       // incToNextRow: gra SRD += inc(lower)
s_addc_u32  s[sgprSrdD+1], s[sgprSrdD+1], 0        // incToNextRow: gra SRD += inc(upper)
_buffer_store_b32 v244, v11, s[sgprSrdD:sgprSrdD+3], 0, offen, offset:0,  sc0 sc1 // store D
v_cmp_class_f32 s[54:55], v[vgprValuC+248], v10    // check NaN and +/-INF
v_med3_f32 v6, v[vgprValuC+248], v8, v9            // Clipping f32 value if exceeds the limit
v_cndmask_b32 v6, v6, v[vgprValuC+248], s[54:55]   // 
v_cmp_class_f32 s[54:55], v[vgprValuC+249], v10    // check NaN and +/-INF
v_med3_f32 v7, v[vgprValuC+249], v8, v9            // Clipping f32 value if exceeds the limit
v_cndmask_b32 v7, v7, v[vgprValuC+249], s[54:55]   // 
v_cvt_pk_bf8_f32  v248, v6, v7 op_sel:[0,0,0]      // convert two f32 accumulated values to fp8 and save it to lo_16[0:15]
v_cmp_class_f32 s[54:55], v[vgprValuC+250], v10    // check NaN and +/-INF
v_med3_f32 v6, v[vgprValuC+250], v8, v9            // Clipping f32 value if exceeds the limit
v_cndmask_b32 v6, v6, v[vgprValuC+250], s[54:55]   // 
v_cmp_class_f32 s[54:55], v[vgprValuC+251], v10    // check NaN and +/-INF
v_med3_f32 v7, v[vgprValuC+251], v8, v9            // Clipping f32 value if exceeds the limit
v_cndmask_b32 v7, v7, v[vgprValuC+251], s[54:55]   // 
v_cvt_pk_bf8_f32  v248, v6, v7 op_sel:[0,0,1]      // convert two f32 accumulated values to fp8 and save it to hi_16[16:31]
s_lshl_b32  s54, s[sgprStrideD1J], 0               // incToNextRow: Scale by BPE
s_add_u32  s[sgprSrdD+0], s[sgprSrdD+0], s54       // incToNextRow: gra SRD += inc(lower)
s_addc_u32  s[sgprSrdD+1], s[sgprSrdD+1], 0        // incToNextRow: gra SRD += inc(upper)
_buffer_store_b32 v248, v11, s[sgprSrdD:sgprSrdD+3], 0, offen, offset:0,  sc0 sc1 // store D
v_cmp_class_f32 s[54:55], v[vgprValuC+252], v10    // check NaN and +/-INF
v_med3_f32 v6, v[vgprValuC+252], v8, v9            // Clipping f32 value if exceeds the limit
v_cndmask_b32 v6, v6, v[vgprValuC+252], s[54:55]   // 
v_cmp_class_f32 s[54:55], v[vgprValuC+253], v10    // check NaN and +/-INF
v_med3_f32 v7, v[vgprValuC+253], v8, v9            // Clipping f32 value if exceeds the limit
v_cndmask_b32 v7, v7, v[vgprValuC+253], s[54:55]   // 
v_cvt_pk_bf8_f32  v252, v6, v7 op_sel:[0,0,0]      // convert two f32 accumulated values to fp8 and save it to lo_16[0:15]
v_cmp_class_f32 s[54:55], v[vgprValuC+254], v10    // check NaN and +/-INF
v_med3_f32 v6, v[vgprValuC+254], v8, v9            // Clipping f32 value if exceeds the limit
v_cndmask_b32 v6, v6, v[vgprValuC+254], s[54:55]   // 
v_cmp_class_f32 s[54:55], v[vgprValuC+255], v10    // check NaN and +/-INF
v_med3_f32 v7, v[vgprValuC+255], v8, v9            // Clipping f32 value if exceeds the limit
v_cndmask_b32 v7, v7, v[vgprValuC+255], s[54:55]   // 
v_cvt_pk_bf8_f32  v252, v6, v7 op_sel:[0,0,1]      // convert two f32 accumulated values to fp8 and save it to hi_16[16:31]
s_lshl_b32  s54, s[sgprStrideD1J], 0               // incToNextRow: Scale by BPE
s_add_u32  s[sgprSrdD+0], s[sgprSrdD+0], s54       // incToNextRow: gra SRD += inc(lower)
s_addc_u32  s[sgprSrdD+1], s[sgprSrdD+1], 0        // incToNextRow: gra SRD += inc(upper)
_buffer_store_b32 v252, v11, s[sgprSrdD:sgprSrdD+3], 0, offen, offset:0,  sc0 sc1 // store D
s_nop 0                                            // 1 wait state required when next inst writes vgprs held by previous dwordx4 store inst
/* optSingleColVgpr=1 optSharedColVgpr=0 optSGPRUsage=BufferLoad_Mask optSrdIncForRow=1 */
s_sleep 3 // optimization: sync and wait
s_barrier

/******************************************/
/* Global Write Batch #1 (d1,d0,vc1,vc0) = */
/*    (14,0,3,0:vw4); (15,0,0,0:vw4); (15,0,1,0:vw4); (15,0,2,0:vw4); (15,0,3,0:vw4) */
/******************************************/

/* calc coords, apply mask, and issue loads (if necessary) */
/* (d1,vc1,d0,vc0)=(14,3,0,0) */
/* (d1,vc1,d0,vc0)=(15,0,0,0) */
	;; [unrolled: 1-line block ×5, first 2 shown]
v_accvgpr_read_b32 v[vgprValuC+16], acc227 // copy acc to vreg[236]
v_accvgpr_read_b32 v[vgprValuC+17], acc231 // copy acc to vreg[237]
v_accvgpr_read_b32 v[vgprValuC+18], acc235 // copy acc to vreg[238]
v_accvgpr_read_b32 v[vgprValuC+19], acc239 // copy acc to vreg[239]
v_accvgpr_read_b32 v[vgprValuC+20], acc240 // copy acc to vreg[240]
v_accvgpr_read_b32 v[vgprValuC+21], acc244 // copy acc to vreg[241]
v_accvgpr_read_b32 v[vgprValuC+22], acc248 // copy acc to vreg[242]
v_accvgpr_read_b32 v[vgprValuC+23], acc252 // copy acc to vreg[243]
v_accvgpr_read_b32 v[vgprValuC+24], acc241 // copy acc to vreg[244]
v_accvgpr_read_b32 v[vgprValuC+25], acc245 // copy acc to vreg[245]
v_accvgpr_read_b32 v[vgprValuC+26], acc249 // copy acc to vreg[246]
v_accvgpr_read_b32 v[vgprValuC+27], acc253 // copy acc to vreg[247]
v_accvgpr_read_b32 v[vgprValuC+28], acc242 // copy acc to vreg[248]
v_accvgpr_read_b32 v[vgprValuC+29], acc246 // copy acc to vreg[249]
v_accvgpr_read_b32 v[vgprValuC+30], acc250 // copy acc to vreg[250]
v_accvgpr_read_b32 v[vgprValuC+31], acc254 // copy acc to vreg[251]
v_accvgpr_read_b32 v[vgprValuC+32], acc243 // copy acc to vreg[252]
v_accvgpr_read_b32 v[vgprValuC+33], acc247 // copy acc to vreg[253]
v_accvgpr_read_b32 v[vgprValuC+34], acc251 // copy acc to vreg[254]
v_accvgpr_read_b32 v[vgprValuC+35], acc255 // copy acc to vreg[255]
s_nop 1                                            // 2 wait states required before reading vgpr

/* apply mask, calc new C and issue writes */
v_mov_b32 v10, 0x207                               // flag for Nan and +/- inf
v_mov_b32 v8, 0x47600000                           // save 57344.0f as max for clipping
v_mov_b32 v9, 0xC7600000                           // save -57344`.0f as min for clipping
v_cmp_class_f32 s[54:55], v[vgprValuC+16], v10     // check NaN and +/-INF
v_med3_f32 v6, v[vgprValuC+16], v8, v9             // Clipping f32 value if exceeds the limit
v_cndmask_b32 v6, v6, v[vgprValuC+16], s[54:55]    // 
v_cmp_class_f32 s[54:55], v[vgprValuC+17], v10     // check NaN and +/-INF
v_med3_f32 v7, v[vgprValuC+17], v8, v9             // Clipping f32 value if exceeds the limit
v_cndmask_b32 v7, v7, v[vgprValuC+17], s[54:55]    // 
v_cvt_pk_bf8_f32  v16, v6, v7 op_sel:[0,0,0]       // convert two f32 accumulated values to fp8 and save it to lo_16[0:15]
v_cmp_class_f32 s[54:55], v[vgprValuC+18], v10     // check NaN and +/-INF
v_med3_f32 v6, v[vgprValuC+18], v8, v9             // Clipping f32 value if exceeds the limit
v_cndmask_b32 v6, v6, v[vgprValuC+18], s[54:55]    // 
v_cmp_class_f32 s[54:55], v[vgprValuC+19], v10     // check NaN and +/-INF
v_med3_f32 v7, v[vgprValuC+19], v8, v9             // Clipping f32 value if exceeds the limit
v_cndmask_b32 v7, v7, v[vgprValuC+19], s[54:55]    // 
v_cvt_pk_bf8_f32  v16, v6, v7 op_sel:[0,0,1]       // convert two f32 accumulated values to fp8 and save it to hi_16[16:31]
s_lshl_b32  s54, s[sgprStrideD1J], 0               // incToNextRow: Scale by BPE
s_add_u32  s[sgprSrdD+0], s[sgprSrdD+0], s54       // incToNextRow: gra SRD += inc(lower)
s_addc_u32  s[sgprSrdD+1], s[sgprSrdD+1], 0        // incToNextRow: gra SRD += inc(upper)
_buffer_store_b32 v16, v11, s[sgprSrdD:sgprSrdD+3], 0, offen, offset:0,  sc0 sc1 // store D
v_cmp_class_f32 s[54:55], v[vgprValuC+20], v10     // check NaN and +/-INF
v_med3_f32 v6, v[vgprValuC+20], v8, v9             // Clipping f32 value if exceeds the limit
v_cndmask_b32 v6, v6, v[vgprValuC+20], s[54:55]    // 
v_cmp_class_f32 s[54:55], v[vgprValuC+21], v10     // check NaN and +/-INF
v_med3_f32 v7, v[vgprValuC+21], v8, v9             // Clipping f32 value if exceeds the limit
v_cndmask_b32 v7, v7, v[vgprValuC+21], s[54:55]    // 
v_cvt_pk_bf8_f32  v20, v6, v7 op_sel:[0,0,0]       // convert two f32 accumulated values to fp8 and save it to lo_16[0:15]
v_cmp_class_f32 s[54:55], v[vgprValuC+22], v10     // check NaN and +/-INF
v_med3_f32 v6, v[vgprValuC+22], v8, v9             // Clipping f32 value if exceeds the limit
v_cndmask_b32 v6, v6, v[vgprValuC+22], s[54:55]    // 
v_cmp_class_f32 s[54:55], v[vgprValuC+23], v10     // check NaN and +/-INF
v_med3_f32 v7, v[vgprValuC+23], v8, v9             // Clipping f32 value if exceeds the limit
v_cndmask_b32 v7, v7, v[vgprValuC+23], s[54:55]    // 
v_cvt_pk_bf8_f32  v20, v6, v7 op_sel:[0,0,1]       // convert two f32 accumulated values to fp8 and save it to hi_16[16:31]
s_mul_i32 s54, s[sgprStrideD1J], 13                // scale StrideD *= numRows(13) * bpe
s_add_u32  s[sgprSrdD+0], s[sgprSrdD+0], s54       // incToNextRow: gra SRD += inc(lower)
s_addc_u32  s[sgprSrdD+1], s[sgprSrdD+1], 0        // incToNextRow: gra SRD += inc(upper)
_buffer_store_b32 v20, v11, s[sgprSrdD:sgprSrdD+3], 0, offen, offset:0,  sc0 sc1 // store D
v_cmp_class_f32 s[54:55], v[vgprValuC+24], v10     // check NaN and +/-INF
v_med3_f32 v6, v[vgprValuC+24], v8, v9             // Clipping f32 value if exceeds the limit
v_cndmask_b32 v6, v6, v[vgprValuC+24], s[54:55]    // 
v_cmp_class_f32 s[54:55], v[vgprValuC+25], v10     // check NaN and +/-INF
v_med3_f32 v7, v[vgprValuC+25], v8, v9             // Clipping f32 value if exceeds the limit
v_cndmask_b32 v7, v7, v[vgprValuC+25], s[54:55]    // 
v_cvt_pk_bf8_f32  v24, v6, v7 op_sel:[0,0,0]       // convert two f32 accumulated values to fp8 and save it to lo_16[0:15]
v_cmp_class_f32 s[54:55], v[vgprValuC+26], v10     // check NaN and +/-INF
v_med3_f32 v6, v[vgprValuC+26], v8, v9             // Clipping f32 value if exceeds the limit
v_cndmask_b32 v6, v6, v[vgprValuC+26], s[54:55]    // 
v_cmp_class_f32 s[54:55], v[vgprValuC+27], v10     // check NaN and +/-INF
v_med3_f32 v7, v[vgprValuC+27], v8, v9             // Clipping f32 value if exceeds the limit
v_cndmask_b32 v7, v7, v[vgprValuC+27], s[54:55]    // 
v_cvt_pk_bf8_f32  v24, v6, v7 op_sel:[0,0,1]       // convert two f32 accumulated values to fp8 and save it to hi_16[16:31]
s_lshl_b32  s54, s[sgprStrideD1J], 0               // incToNextRow: Scale by BPE
s_add_u32  s[sgprSrdD+0], s[sgprSrdD+0], s54       // incToNextRow: gra SRD += inc(lower)
s_addc_u32  s[sgprSrdD+1], s[sgprSrdD+1], 0        // incToNextRow: gra SRD += inc(upper)
_buffer_store_b32 v24, v11, s[sgprSrdD:sgprSrdD+3], 0, offen, offset:0,  sc0 sc1 // store D
v_cmp_class_f32 s[54:55], v[vgprValuC+28], v10     // check NaN and +/-INF
v_med3_f32 v6, v[vgprValuC+28], v8, v9             // Clipping f32 value if exceeds the limit
v_cndmask_b32 v6, v6, v[vgprValuC+28], s[54:55]    // 
v_cmp_class_f32 s[54:55], v[vgprValuC+29], v10     // check NaN and +/-INF
v_med3_f32 v7, v[vgprValuC+29], v8, v9             // Clipping f32 value if exceeds the limit
v_cndmask_b32 v7, v7, v[vgprValuC+29], s[54:55]    // 
v_cvt_pk_bf8_f32  v28, v6, v7 op_sel:[0,0,0]       // convert two f32 accumulated values to fp8 and save it to lo_16[0:15]
v_cmp_class_f32 s[54:55], v[vgprValuC+30], v10     // check NaN and +/-INF
v_med3_f32 v6, v[vgprValuC+30], v8, v9             // Clipping f32 value if exceeds the limit
v_cndmask_b32 v6, v6, v[vgprValuC+30], s[54:55]    // 
v_cmp_class_f32 s[54:55], v[vgprValuC+31], v10     // check NaN and +/-INF
v_med3_f32 v7, v[vgprValuC+31], v8, v9             // Clipping f32 value if exceeds the limit
v_cndmask_b32 v7, v7, v[vgprValuC+31], s[54:55]    // 
v_cvt_pk_bf8_f32  v28, v6, v7 op_sel:[0,0,1]       // convert two f32 accumulated values to fp8 and save it to hi_16[16:31]
s_lshl_b32  s54, s[sgprStrideD1J], 0               // incToNextRow: Scale by BPE
s_add_u32  s[sgprSrdD+0], s[sgprSrdD+0], s54       // incToNextRow: gra SRD += inc(lower)
s_addc_u32  s[sgprSrdD+1], s[sgprSrdD+1], 0        // incToNextRow: gra SRD += inc(upper)
_buffer_store_b32 v28, v11, s[sgprSrdD:sgprSrdD+3], 0, offen, offset:0,  sc0 sc1 // store D
v_cmp_class_f32 s[54:55], v[vgprValuC+32], v10     // check NaN and +/-INF
v_med3_f32 v6, v[vgprValuC+32], v8, v9             // Clipping f32 value if exceeds the limit
v_cndmask_b32 v6, v6, v[vgprValuC+32], s[54:55]    // 
v_cmp_class_f32 s[54:55], v[vgprValuC+33], v10     // check NaN and +/-INF
v_med3_f32 v7, v[vgprValuC+33], v8, v9             // Clipping f32 value if exceeds the limit
v_cndmask_b32 v7, v7, v[vgprValuC+33], s[54:55]    // 
v_cvt_pk_bf8_f32  v32, v6, v7 op_sel:[0,0,0]       // convert two f32 accumulated values to fp8 and save it to lo_16[0:15]
v_cmp_class_f32 s[54:55], v[vgprValuC+34], v10     // check NaN and +/-INF
v_med3_f32 v6, v[vgprValuC+34], v8, v9             // Clipping f32 value if exceeds the limit
v_cndmask_b32 v6, v6, v[vgprValuC+34], s[54:55]    // 
v_cmp_class_f32 s[54:55], v[vgprValuC+35], v10     // check NaN and +/-INF
v_med3_f32 v7, v[vgprValuC+35], v8, v9             // Clipping f32 value if exceeds the limit
v_cndmask_b32 v7, v7, v[vgprValuC+35], s[54:55]    // 
v_cvt_pk_bf8_f32  v32, v6, v7 op_sel:[0,0,1]       // convert two f32 accumulated values to fp8 and save it to hi_16[16:31]
s_lshl_b32  s54, s[sgprStrideD1J], 0               // incToNextRow: Scale by BPE
s_add_u32  s[sgprSrdD+0], s[sgprSrdD+0], s54       // incToNextRow: gra SRD += inc(lower)
s_addc_u32  s[sgprSrdD+1], s[sgprSrdD+1], 0        // incToNextRow: gra SRD += inc(upper)
_buffer_store_b32 v32, v11, s[sgprSrdD:sgprSrdD+3], 0, offen, offset:0,  sc0 sc1 // store D
s_nop 0                                            // 1 wait state required when next inst writes vgprs held by previous dwordx4 store inst
s_branch label_GW_End_23                           // jump to end
label_GW_End_23:

s_endpgm                                           // Kernel End
OptNLL_End_17:


/******************************************/
/* Ord. NoLoadLoop - Begin                                      */
/******************************************/


	;; [unrolled: 1-line block ×4, first 2 shown]
/* iter 0 (last unrolled loop) */

/*  grEndMfmaIndex:0, lwStartMfmaIndex:96, lwEndMfmaIndex:96  */
/*  numMfmaForLR:29, barrierMfmaIndex:98, LocalWritePerMfma:0.300 */
/*  mfmaIndex:0  */
s_waitcnt lgkmcnt(0)                               // lgkmcnt=0 vmcnt=-1wait for prior local read local write old=0, new=0 newLW=0 newLR=0
/* pack scheduling: packAIdx:6, packBIdx:0 */
v_perm_b32 v[vgprValuA_X0_I0+0], v[vgprValuA_X0_I0_D1+0], v[vgprValuA_X0_I0_D0+0], s[sgprPackKForV0] // select K=01 for vector=0
v_perm_b32 v[vgprPackTemp], v[vgprValuA_X0_I0_D3+0], v[vgprValuA_X0_I0_D2+0], s[sgprPackKForV0] // select K=23 for vector=0
_v_lshl_or_b32 v[vgprValuA_X0_I0+0], v[vgprPackTemp], 0x10, v[vgprValuA_X0_I0+0] // pack two half Vgpr to one Vgpr
v_perm_b32 v[vgprValuA_X0_I0+1], v[vgprValuA_X0_I0_D5+0], v[vgprValuA_X0_I0_D4+0], s[sgprPackKForV0] // select K=45 for vector=0
v_perm_b32 v[vgprPackTemp], v[vgprValuA_X0_I0_D7+0], v[vgprValuA_X0_I0_D6+0], s[sgprPackKForV0] // select K=67 for vector=0
_v_lshl_or_b32 v[vgprValuA_X0_I0+1], v[vgprPackTemp], 0x10, v[vgprValuA_X0_I0+1] // pack two half Vgpr to one Vgpr
v_perm_b32 v[vgprValuA_X0_I0+2], v[vgprValuA_X0_I0_D1+0], v[vgprValuA_X0_I0_D0+0], s[sgprPackKForV1] // select K=01 for vector=1
v_perm_b32 v[vgprPackTemp], v[vgprValuA_X0_I0_D3+0], v[vgprValuA_X0_I0_D2+0], s[sgprPackKForV1] // select K=23 for vector=1
_v_lshl_or_b32 v[vgprValuA_X0_I0+2], v[vgprPackTemp], 0x10, v[vgprValuA_X0_I0+2] // pack two half Vgpr to one Vgpr
v_perm_b32 v[vgprValuA_X0_I0+3], v[vgprValuA_X0_I0_D5+0], v[vgprValuA_X0_I0_D4+0], s[sgprPackKForV1] // select K=45 for vector=1
v_perm_b32 v[vgprPackTemp], v[vgprValuA_X0_I0_D7+0], v[vgprValuA_X0_I0_D6+0], s[sgprPackKForV1] // select K=67 for vector=1
_v_lshl_or_b32 v[vgprValuA_X0_I0+3], v[vgprPackTemp], 0x10, v[vgprValuA_X0_I0+3] // pack two half Vgpr to one Vgpr
v_mfma_f32_16x16x32_bf8_fp8 a[0+0:3+0], v[vgprValuB_X0_I0+0+0+0:vgprValuB_X0_I0+0+0+0+1], v[vgprValuA_X0_I0+0+0+0:vgprValuA_X0_I0+0+0+0+1], a[0:3]
/*  mfmaIndex:1  */
_ds_load_b32 v[vgprValuA_X1_I0_D0+0], v[vgprLocalReadAddrA] offset:8448 // L -> Reg lro=8192 swapByteOffset=0 ti=256 vIdx=0 rIdx=0 oIdx=0 buffer=1 iui=0
/* pack scheduling: packAIdx:12, packBIdx:0 */
v_perm_b32 v[vgprValuA_X0_I0+4], v[vgprValuA_X0_I0_D1+0], v[vgprValuA_X0_I0_D0+0], s[sgprPackKForV2] // select K=01 for vector=2
v_perm_b32 v[vgprPackTemp], v[vgprValuA_X0_I0_D3+0], v[vgprValuA_X0_I0_D2+0], s[sgprPackKForV2] // select K=23 for vector=2
_v_lshl_or_b32 v[vgprValuA_X0_I0+4], v[vgprPackTemp], 0x10, v[vgprValuA_X0_I0+4] // pack two half Vgpr to one Vgpr
v_perm_b32 v[vgprValuA_X0_I0+5], v[vgprValuA_X0_I0_D5+0], v[vgprValuA_X0_I0_D4+0], s[sgprPackKForV2] // select K=45 for vector=2
v_perm_b32 v[vgprPackTemp], v[vgprValuA_X0_I0_D7+0], v[vgprValuA_X0_I0_D6+0], s[sgprPackKForV2] // select K=67 for vector=2
_v_lshl_or_b32 v[vgprValuA_X0_I0+5], v[vgprPackTemp], 0x10, v[vgprValuA_X0_I0+5] // pack two half Vgpr to one Vgpr
v_mfma_f32_16x16x32_bf8_fp8 a[4+0:7+0], v[vgprValuB_X0_I0+0+0+0:vgprValuB_X0_I0+0+0+0+1], v[vgprValuA_X0_I0+2+0+0:vgprValuA_X0_I0+2+0+0+1], a[4:7]
/*  mfmaIndex:2  */
_ds_load_b32 v[vgprValuA_X1_I0_D1+0], v[vgprLocalReadAddrA] offset:8704 // L -> Reg lro=8192 swapByteOffset=0 ti=256 vIdx=0 rIdx=1 oIdx=0 buffer=1 iui=0
/* pack scheduling: packAIdx:18, packBIdx:0 */
v_perm_b32 v[vgprValuA_X0_I0+6], v[vgprValuA_X0_I0_D1+0], v[vgprValuA_X0_I0_D0+0], s[sgprPackKForV3] // select K=01 for vector=3
v_perm_b32 v[vgprPackTemp], v[vgprValuA_X0_I0_D3+0], v[vgprValuA_X0_I0_D2+0], s[sgprPackKForV3] // select K=23 for vector=3
_v_lshl_or_b32 v[vgprValuA_X0_I0+6], v[vgprPackTemp], 0x10, v[vgprValuA_X0_I0+6] // pack two half Vgpr to one Vgpr
v_perm_b32 v[vgprValuA_X0_I0+7], v[vgprValuA_X0_I0_D5+0], v[vgprValuA_X0_I0_D4+0], s[sgprPackKForV3] // select K=45 for vector=3
v_perm_b32 v[vgprPackTemp], v[vgprValuA_X0_I0_D7+0], v[vgprValuA_X0_I0_D6+0], s[sgprPackKForV3] // select K=67 for vector=3
_v_lshl_or_b32 v[vgprValuA_X0_I0+7], v[vgprPackTemp], 0x10, v[vgprValuA_X0_I0+7] // pack two half Vgpr to one Vgpr
v_mfma_f32_16x16x32_bf8_fp8 a[8+0:11+0], v[vgprValuB_X0_I0+0+0+0:vgprValuB_X0_I0+0+0+0+1], v[vgprValuA_X0_I0+4+0+0:vgprValuA_X0_I0+4+0+0+1], a[8:11]
/*  mfmaIndex:3  */
_ds_load_b32 v[vgprValuA_X1_I0_D2+0], v[vgprLocalReadAddrA] offset:8960 // L -> Reg lro=8192 swapByteOffset=0 ti=256 vIdx=0 rIdx=2 oIdx=0 buffer=1 iui=0
v_mfma_f32_16x16x32_bf8_fp8 a[12+0:15+0], v[vgprValuB_X0_I0+0+0+0:vgprValuB_X0_I0+0+0+0+1], v[vgprValuA_X0_I0+6+0+0:vgprValuA_X0_I0+6+0+0+1], a[12:15]
/*  mfmaIndex:4  */
_ds_load_b32 v[vgprValuA_X1_I0_D3+0], v[vgprLocalReadAddrA] offset:9216 // L -> Reg lro=8192 swapByteOffset=0 ti=256 vIdx=0 rIdx=3 oIdx=0 buffer=1 iui=0
v_mfma_f32_16x16x32_bf8_fp8 a[28+0:31+0], v[vgprValuB_X0_I0+2+0+0:vgprValuB_X0_I0+2+0+0+1], v[vgprValuA_X0_I0+6+0+0:vgprValuA_X0_I0+6+0+0+1], a[28:31]
/*  mfmaIndex:5  */
_ds_load_b32 v[vgprValuA_X1_I0_D4+0], v[vgprLocalReadAddrA] offset:9472 // L -> Reg lro=8192 swapByteOffset=0 ti=256 vIdx=0 rIdx=4 oIdx=0 buffer=1 iui=0
v_mfma_f32_16x16x32_bf8_fp8 a[24+0:27+0], v[vgprValuB_X0_I0+2+0+0:vgprValuB_X0_I0+2+0+0+1], v[vgprValuA_X0_I0+4+0+0:vgprValuA_X0_I0+4+0+0+1], a[24:27]
/*  mfmaIndex:6  */
_ds_load_b32 v[vgprValuA_X1_I0_D5+0], v[vgprLocalReadAddrA] offset:9728 // L -> Reg lro=8192 swapByteOffset=0 ti=256 vIdx=0 rIdx=5 oIdx=0 buffer=1 iui=0
v_mfma_f32_16x16x32_bf8_fp8 a[20+0:23+0], v[vgprValuB_X0_I0+2+0+0:vgprValuB_X0_I0+2+0+0+1], v[vgprValuA_X0_I0+2+0+0:vgprValuA_X0_I0+2+0+0+1], a[20:23]
/*  mfmaIndex:7  */
_ds_load_b32 v[vgprValuA_X1_I0_D6+0], v[vgprLocalReadAddrA] offset:9984 // L -> Reg lro=8192 swapByteOffset=0 ti=256 vIdx=0 rIdx=6 oIdx=0 buffer=1 iui=0
v_mfma_f32_16x16x32_bf8_fp8 a[16+0:19+0], v[vgprValuB_X0_I0+2+0+0:vgprValuB_X0_I0+2+0+0+1], v[vgprValuA_X0_I0+0+0+0:vgprValuA_X0_I0+0+0+0+1], a[16:19]
/*  mfmaIndex:8  */
_ds_load_b32 v[vgprValuA_X1_I0_D7+0], v[vgprLocalReadAddrA] offset:10240 // L -> Reg lro=8192 swapByteOffset=0 ti=256 vIdx=0 rIdx=7 oIdx=0 buffer=1 iui=0
v_mfma_f32_16x16x32_bf8_fp8 a[32+0:35+0], v[vgprValuB_X0_I0+4+0+0:vgprValuB_X0_I0+4+0+0+1], v[vgprValuA_X0_I0+0+0+0:vgprValuA_X0_I0+0+0+0+1], a[32:35]
/*  mfmaIndex:9  */
_ds_load_b64 v[vgprValuB_X1_I0+0:vgprValuB_X1_I0+0+1], v[vgprLocalReadAddrB] offset:32 // L -> Reg lro=32 swapByteOffset=0 ti=16 vIdx=0 rIdx=0 oIdx=0 buffer=1 iui=0
v_mfma_f32_16x16x32_bf8_fp8 a[36+0:39+0], v[vgprValuB_X0_I0+4+0+0:vgprValuB_X0_I0+4+0+0+1], v[vgprValuA_X0_I0+2+0+0:vgprValuA_X0_I0+2+0+0+1], a[36:39]
/*  mfmaIndex:10  */
_ds_load_b64 v[vgprValuB_X1_I0+2:vgprValuB_X1_I0+2+1], v[vgprLocalReadAddrB] offset:1120 // L -> Reg lro=32 swapByteOffset=0 ti=16 vIdx=1 rIdx=0 oIdx=0 buffer=1 iui=0
	;; [unrolled: 3-line block ×16, first 2 shown]
v_mfma_f32_16x16x32_bf8_fp8 a[96+0:99+0], v[vgprValuB_X0_I0+12+0+0:vgprValuB_X0_I0+12+0+0+1], v[vgprValuA_X0_I0+0+0+0:vgprValuA_X0_I0+0+0+0+1], a[96:99]
/*  mfmaIndex:25  */
/* localReadsVacancy: latencyLeft 2 */
v_mfma_f32_16x16x32_bf8_fp8 a[100+0:103+0], v[vgprValuB_X0_I0+12+0+0:vgprValuB_X0_I0+12+0+0+1], v[vgprValuA_X0_I0+2+0+0:vgprValuA_X0_I0+2+0+0+1], a[100:103]
/*  mfmaIndex:26  */
/* localReadsVacancy: latencyLeft 2 */
	;; [unrolled: 3-line block ×39, first 2 shown]
v_mfma_f32_16x16x32_bf8_fp8 a[240+0:243+0], v[vgprValuB_X0_I0+30+0+0:vgprValuB_X0_I0+30+0+0+1], v[vgprValuA_X0_I0+0+0+0:vgprValuA_X0_I0+0+0+0+1], a[240:243]
/* numPrefetchIter=0 */
/* dataAtIterA=-1 numReadsIterA=1 skipReadsIterA=1 readsPerIterA=8 */
/* dataAtIterB=-1 numReadsIterB=1 skipReadsIterB=1 readsPerIterB=16 */


/* iter 1 (last unrolled loop) */

/*  grEndMfmaIndex:0, lwStartMfmaIndex:96, lwEndMfmaIndex:96  */
/*  numMfmaForLR:29, barrierMfmaIndex:98, LocalWritePerMfma:0.300 */
/*  mfmaIndex:64  */
s_waitcnt lgkmcnt(0)                               // lgkmcnt=0 vmcnt=-1wait for prior local read local write old=0, new=0 newLW=0 newLR=0
/* pack scheduling: packAIdx:6, packBIdx:0 */
v_perm_b32 v[vgprValuA_X1_I0+0], v[vgprValuA_X1_I0_D1+0], v[vgprValuA_X1_I0_D0+0], s[sgprPackKForV0] // select K=01 for vector=0
v_perm_b32 v[vgprPackTemp], v[vgprValuA_X1_I0_D3+0], v[vgprValuA_X1_I0_D2+0], s[sgprPackKForV0] // select K=23 for vector=0
_v_lshl_or_b32 v[vgprValuA_X1_I0+0], v[vgprPackTemp], 0x10, v[vgprValuA_X1_I0+0] // pack two half Vgpr to one Vgpr
v_perm_b32 v[vgprValuA_X1_I0+1], v[vgprValuA_X1_I0_D5+0], v[vgprValuA_X1_I0_D4+0], s[sgprPackKForV0] // select K=45 for vector=0
v_perm_b32 v[vgprPackTemp], v[vgprValuA_X1_I0_D7+0], v[vgprValuA_X1_I0_D6+0], s[sgprPackKForV0] // select K=67 for vector=0
_v_lshl_or_b32 v[vgprValuA_X1_I0+1], v[vgprPackTemp], 0x10, v[vgprValuA_X1_I0+1] // pack two half Vgpr to one Vgpr
v_perm_b32 v[vgprValuA_X1_I0+2], v[vgprValuA_X1_I0_D1+0], v[vgprValuA_X1_I0_D0+0], s[sgprPackKForV1] // select K=01 for vector=1
v_perm_b32 v[vgprPackTemp], v[vgprValuA_X1_I0_D3+0], v[vgprValuA_X1_I0_D2+0], s[sgprPackKForV1] // select K=23 for vector=1
_v_lshl_or_b32 v[vgprValuA_X1_I0+2], v[vgprPackTemp], 0x10, v[vgprValuA_X1_I0+2] // pack two half Vgpr to one Vgpr
v_perm_b32 v[vgprValuA_X1_I0+3], v[vgprValuA_X1_I0_D5+0], v[vgprValuA_X1_I0_D4+0], s[sgprPackKForV1] // select K=45 for vector=1
v_perm_b32 v[vgprPackTemp], v[vgprValuA_X1_I0_D7+0], v[vgprValuA_X1_I0_D6+0], s[sgprPackKForV1] // select K=67 for vector=1
_v_lshl_or_b32 v[vgprValuA_X1_I0+3], v[vgprPackTemp], 0x10, v[vgprValuA_X1_I0+3] // pack two half Vgpr to one Vgpr
v_mfma_f32_16x16x32_bf8_fp8 a[0+0:3+0], v[vgprValuB_X1_I0+0+0+0:vgprValuB_X1_I0+0+0+0+1], v[vgprValuA_X1_I0+0+0+0:vgprValuA_X1_I0+0+0+0+1], a[0:3]
/*  mfmaIndex:65  */
/* pack scheduling: packAIdx:12, packBIdx:0 */
v_perm_b32 v[vgprValuA_X1_I0+4], v[vgprValuA_X1_I0_D1+0], v[vgprValuA_X1_I0_D0+0], s[sgprPackKForV2] // select K=01 for vector=2
v_perm_b32 v[vgprPackTemp], v[vgprValuA_X1_I0_D3+0], v[vgprValuA_X1_I0_D2+0], s[sgprPackKForV2] // select K=23 for vector=2
_v_lshl_or_b32 v[vgprValuA_X1_I0+4], v[vgprPackTemp], 0x10, v[vgprValuA_X1_I0+4] // pack two half Vgpr to one Vgpr
v_perm_b32 v[vgprValuA_X1_I0+5], v[vgprValuA_X1_I0_D5+0], v[vgprValuA_X1_I0_D4+0], s[sgprPackKForV2] // select K=45 for vector=2
v_perm_b32 v[vgprPackTemp], v[vgprValuA_X1_I0_D7+0], v[vgprValuA_X1_I0_D6+0], s[sgprPackKForV2] // select K=67 for vector=2
_v_lshl_or_b32 v[vgprValuA_X1_I0+5], v[vgprPackTemp], 0x10, v[vgprValuA_X1_I0+5] // pack two half Vgpr to one Vgpr
v_mfma_f32_16x16x32_bf8_fp8 a[4+0:7+0], v[vgprValuB_X1_I0+0+0+0:vgprValuB_X1_I0+0+0+0+1], v[vgprValuA_X1_I0+2+0+0:vgprValuA_X1_I0+2+0+0+1], a[4:7]
/*  mfmaIndex:66  */
/* pack scheduling: packAIdx:18, packBIdx:0 */
v_perm_b32 v[vgprValuA_X1_I0+6], v[vgprValuA_X1_I0_D1+0], v[vgprValuA_X1_I0_D0+0], s[sgprPackKForV3] // select K=01 for vector=3
v_perm_b32 v[vgprPackTemp], v[vgprValuA_X1_I0_D3+0], v[vgprValuA_X1_I0_D2+0], s[sgprPackKForV3] // select K=23 for vector=3
_v_lshl_or_b32 v[vgprValuA_X1_I0+6], v[vgprPackTemp], 0x10, v[vgprValuA_X1_I0+6] // pack two half Vgpr to one Vgpr
v_perm_b32 v[vgprValuA_X1_I0+7], v[vgprValuA_X1_I0_D5+0], v[vgprValuA_X1_I0_D4+0], s[sgprPackKForV3] // select K=45 for vector=3
v_perm_b32 v[vgprPackTemp], v[vgprValuA_X1_I0_D7+0], v[vgprValuA_X1_I0_D6+0], s[sgprPackKForV3] // select K=67 for vector=3
_v_lshl_or_b32 v[vgprValuA_X1_I0+7], v[vgprPackTemp], 0x10, v[vgprValuA_X1_I0+7] // pack two half Vgpr to one Vgpr
v_mfma_f32_16x16x32_bf8_fp8 a[8+0:11+0], v[vgprValuB_X1_I0+0+0+0:vgprValuB_X1_I0+0+0+0+1], v[vgprValuA_X1_I0+4+0+0:vgprValuA_X1_I0+4+0+0+1], a[8:11]
/*  mfmaIndex:67  */
v_mfma_f32_16x16x32_bf8_fp8 a[12+0:15+0], v[vgprValuB_X1_I0+0+0+0:vgprValuB_X1_I0+0+0+0+1], v[vgprValuA_X1_I0+6+0+0:vgprValuA_X1_I0+6+0+0+1], a[12:15]
/*  mfmaIndex:68  */
	;; [unrolled: 2-line block ×29, first 2 shown]
/* 1 LDS buffer: read-sync-write */
s_waitcnt lgkmcnt(0)                               // 
s_barrier                                          // 
v_mfma_f32_16x16x32_bf8_fp8 a[112+0:115+0], v[vgprValuB_X1_I0+14+0+0:vgprValuB_X1_I0+14+0+0+1], v[vgprValuA_X1_I0+0+0+0:vgprValuA_X1_I0+0+0+0+1], a[112:115]
/*  mfmaIndex:96  */
s_setprio 3                                        // store optimization
v_mfma_f32_16x16x32_bf8_fp8 a[128+0:131+0], v[vgprValuB_X1_I0+16+0+0:vgprValuB_X1_I0+16+0+0+1], v[vgprValuA_X1_I0+0+0+0:vgprValuA_X1_I0+0+0+0+1], a[128:131]
/*  mfmaIndex:97  */
v_mfma_f32_16x16x32_bf8_fp8 a[132+0:135+0], v[vgprValuB_X1_I0+16+0+0:vgprValuB_X1_I0+16+0+0+1], v[vgprValuA_X1_I0+2+0+0:vgprValuA_X1_I0+2+0+0+1], a[132:135]
s_setprio 0                                        // store optimization
/*  mfmaIndex:98  */
v_mfma_f32_16x16x32_bf8_fp8 a[136+0:139+0], v[vgprValuB_X1_I0+16+0+0:vgprValuB_X1_I0+16+0+0+1], v[vgprValuA_X1_I0+4+0+0:vgprValuA_X1_I0+4+0+0+1], a[136:139]
/*  mfmaIndex:99  */
s_setprio 3                                        // store optimization
v_mfma_f32_16x16x32_bf8_fp8 a[140+0:143+0], v[vgprValuB_X1_I0+16+0+0:vgprValuB_X1_I0+16+0+0+1], v[vgprValuA_X1_I0+6+0+0:vgprValuA_X1_I0+6+0+0+1], a[140:143]
/*  mfmaIndex:100  */
v_mfma_f32_16x16x32_bf8_fp8 a[156+0:159+0], v[vgprValuB_X1_I0+18+0+0:vgprValuB_X1_I0+18+0+0+1], v[vgprValuA_X1_I0+6+0+0:vgprValuA_X1_I0+6+0+0+1], a[156:159]
/*  mfmaIndex:101  */
	;; [unrolled: 2-line block ×28, first 2 shown]
v_mfma_f32_16x16x32_bf8_fp8 a[240+0:243+0], v[vgprValuB_X1_I0+30+0+0:vgprValuB_X1_I0+30+0+0+1], v[vgprValuA_X1_I0+0+0+0:vgprValuA_X1_I0+0+0+0+1], a[240:243]
/* numPrefetchIter=0 */
/* dataAtIterA=0 numReadsIterA=1 skipReadsIterA=0 readsPerIterA=8 */
/* dataAtIterB=0 numReadsIterB=1 skipReadsIterB=0 readsPerIterB=16 */

PrefetchGlobalLastIterEnd_5:

Summation_End_28:
s_setprio 0                                        // optimization store
/* endSummation: add vgpr [0...124) to pool */
.set NumFullBlocks, UNDEF
.set WgmRemainder1, UNDEF
.set MagicNumberWgmRemainder1, UNDEF
.set PackKForV0, UNDEF
.set PackKForV1, UNDEF
.set PackKForV2, UNDEF
.set PackKForV3, UNDEF
.set ScalarGlobalReadOffsetA, UNDEF
.set ScalarGlobalReadOffsetB, UNDEF

/* Mapping of Acc register -> C Vgpr register */


	;; [unrolled: 1-line block ×3, first 2 shown]
/* not-LocalSplitU: global write indices */

/* computeStoreVgprs */
v_lshrrev_b32 v4, 6, v[vgprSerial]                 // v4 = v[vgprSerial] / 64
v_and_b32 v1, 63, v[vgprSerial]                    // v1 = v[vgprSerial] % 64
v_lshrrev_b32 v1, 4, v1                            // v1 = v1 / 16
v_lshlrev_b32 v1, 0x2, v1                          // thread0 * continuous_output
v_lshrrev_b32 v5, 2, v4                            // v5 = v4 / 4
v_mul_lo_u32 v5, 0x10, v5                          // wave coordination offset 1
_v_add_lshl_u32 v1, v5, v1, 0                      // coordination 1 = vwb *(wave_id1 + tid1)
v_mul_lo_u32 v2, v1, s[sgprStrideC1J]              //  offset 1
v_mul_lo_u32 v3, v1, s[sgprStrideD1J]              //  offset 1
v_and_b32 v5, 3, v4                                // v5 = v4 % 4
v_mul_lo_u32 v5, 0x10, v5                          // wave coordination offset 0
v_and_b32 v0, 15, v[vgprSerial]                    // v0 = v[vgprSerial] % 16
_v_add_lshl_u32 v0, v5, v0, 2                      // coordination 0 = vwa *(wave_id0 + tid0)
s_mul_i32 s53, 256, s[sgprWorkGroup0]              // wgp0 * MT0
_v_add_u32 v0, s53, v0                             // coord 0 = (tid0/MI_m)*4 + waveG0*MIB_m + MT0*SG0
s_mul_i32 s53, 256, s[sgprWorkGroup1]              // wgp1 * MT1
_v_add_u32 v1, s53, v1                             // coord 1 = (tid0%MI_m) + waveG1*MIB_n + MT1*SG1


/* not-LocalSplitU: global write */

s_cmpk_eq_u32 s[sgprBeta], 0x0                     // Beta == 0
s_cbranch_scc0 GW_Beta_43                          // Branch if Beta is not zero

s_and_b32 s54, 255, s[sgprSizeI]                   // s54 = s[sgprSizeI] % 256
s_add_u32 s55, -0x1, s[sgprNumWorkGroups0]         // 
s_cmp_ge_u32 s[sgprWorkGroup0], s55                // wg0 >= nwg0-1 ?
s_cselect_b32 s54, s54, 0                          // set rMT0
s_cmpk_gt_u32 s54, 0x0                             // rMT0 > 0
s_cbranch_scc1 GW_B0_E1_34                         // jump if edges required
s_and_b32 s54, 255, s[sgprSizeJ]                   // s54 = s[sgprSizeJ] % 256
s_add_u32 s55, -0x1, s[sgprNumWorkGroups1]         // 
s_cmp_ge_u32 s[sgprWorkGroup1], s55                // wg1 >= nwg1-1
s_cselect_b32 s54, s54, 0                          // set rMT1
s_cmpk_gt_u32 s54, 0x0                             // rMT1 > 0
s_cbranch_scc1 GW_B0_E1_34                         // jump if edges required
GW_B0_E0_31:

/* edge=0, allocate 2 sgpr. perBatchTmpS=2 perBatchMaskS=0 perElementMaskS=0 elementsPerBatch=59 */
/* optSingleColVgpr=1 optSharedColVgpr=0 optSGPRUsage=BufferLoad_Mask optSrdIncForRow=1 */
s_sleep 3 // optimization: sync and wait
s_barrier

/******************************************/
/* Global Write Alpha Batch #0 (d1,d0,vc1,vc0) = */
/*    (0,0,0,0:vw4); (0,0,1,0:vw4); (0,0,2,0:vw4); (0,0,3,0:vw4); (1,0,0,0:vw4); (1,0,1,0:vw4); (1,0,2,0:vw4); (1,0,3,0:vw4); (2,0,0,0:vw4); (2,0,1,0:vw4); (2,0,2,0:vw4); (2,0,3,0:vw4); (3,0,0,0:vw4); (3,0,1,0:vw4); (3,0,2,0:vw4); (3,0,3,0:vw4); (4,0,0,0:vw4); (4,0,1,0:vw4); (4,0,2,0:vw4); (4,0,3,0:vw4); (5,0,0,0:vw4); (5,0,1,0:vw4); (5,0,2,0:vw4); (5,0,3,0:vw4); (6,0,0,0:vw4); (6,0,1,0:vw4); (6,0,2,0:vw4); (6,0,3,0:vw4); (7,0,0,0:vw4); (7,0,1,0:vw4); (7,0,2,0:vw4); (7,0,3,0:vw4); (8,0,0,0:vw4); (8,0,1,0:vw4); (8,0,2,0:vw4); (8,0,3,0:vw4); (9,0,0,0:vw4); (9,0,1,0:vw4); (9,0,2,0:vw4); (9,0,3,0:vw4); (10,0,0,0:vw4); (10,0,1,0:vw4); (10,0,2,0:vw4); (10,0,3,0:vw4); (11,0,0,0:vw4); (11,0,1,0:vw4); (11,0,2,0:vw4); (11,0,3,0:vw4); (12,0,0,0:vw4); (12,0,1,0:vw4); (12,0,2,0:vw4); (12,0,3,0:vw4); (13,0,0,0:vw4); (13,0,1,0:vw4); (13,0,2,0:vw4); (13,0,3,0:vw4); (14,0,0,0:vw4); (14,0,1,0:vw4); (14,0,2,0:vw4) */
/******************************************/

/* calc coords, apply mask, and issue loads (if necessary) */
/* (d1,vc1,d0,vc0)=(0,0,0,0) */
/* (d1,vc1,d0,vc0)=(0,1,0,0) */
	;; [unrolled: 1-line block ×59, first 2 shown]
_v_add_lshl_u32 v11, v3, v0, 0x0                   // optSingleColVgpr scaleToBpe: sharedAddrVgpr <- cinRowPtr + coord0, scaled by BPE. BSHERE:coord0=0, coord0Vgpr=0
v_accvgpr_read_b32 v[vgprValuC+16], acc0 // copy acc to vreg[0]
v_accvgpr_read_b32 v[vgprValuC+17], acc4 // copy acc to vreg[1]
v_accvgpr_read_b32 v[vgprValuC+18], acc8 // copy acc to vreg[2]
v_accvgpr_read_b32 v[vgprValuC+19], acc12 // copy acc to vreg[3]
v_accvgpr_read_b32 v[vgprValuC+20], acc1 // copy acc to vreg[4]
v_accvgpr_read_b32 v[vgprValuC+21], acc5 // copy acc to vreg[5]
v_accvgpr_read_b32 v[vgprValuC+22], acc9 // copy acc to vreg[6]
v_accvgpr_read_b32 v[vgprValuC+23], acc13 // copy acc to vreg[7]
v_accvgpr_read_b32 v[vgprValuC+24], acc2 // copy acc to vreg[8]
v_accvgpr_read_b32 v[vgprValuC+25], acc6 // copy acc to vreg[9]
v_accvgpr_read_b32 v[vgprValuC+26], acc10 // copy acc to vreg[10]
v_accvgpr_read_b32 v[vgprValuC+27], acc14 // copy acc to vreg[11]
v_accvgpr_read_b32 v[vgprValuC+28], acc3 // copy acc to vreg[12]
v_accvgpr_read_b32 v[vgprValuC+29], acc7 // copy acc to vreg[13]
v_accvgpr_read_b32 v[vgprValuC+30], acc11 // copy acc to vreg[14]
v_accvgpr_read_b32 v[vgprValuC+31], acc15 // copy acc to vreg[15]
v_accvgpr_read_b32 v[vgprValuC+32], acc16 // copy acc to vreg[16]
v_accvgpr_read_b32 v[vgprValuC+33], acc20 // copy acc to vreg[17]
v_accvgpr_read_b32 v[vgprValuC+34], acc24 // copy acc to vreg[18]
v_accvgpr_read_b32 v[vgprValuC+35], acc28 // copy acc to vreg[19]
v_accvgpr_read_b32 v[vgprValuC+36], acc17 // copy acc to vreg[20]
v_accvgpr_read_b32 v[vgprValuC+37], acc21 // copy acc to vreg[21]
v_accvgpr_read_b32 v[vgprValuC+38], acc25 // copy acc to vreg[22]
v_accvgpr_read_b32 v[vgprValuC+39], acc29 // copy acc to vreg[23]
v_accvgpr_read_b32 v[vgprValuC+40], acc18 // copy acc to vreg[24]
v_accvgpr_read_b32 v[vgprValuC+41], acc22 // copy acc to vreg[25]
v_accvgpr_read_b32 v[vgprValuC+42], acc26 // copy acc to vreg[26]
v_accvgpr_read_b32 v[vgprValuC+43], acc30 // copy acc to vreg[27]
v_accvgpr_read_b32 v[vgprValuC+44], acc19 // copy acc to vreg[28]
v_accvgpr_read_b32 v[vgprValuC+45], acc23 // copy acc to vreg[29]
v_accvgpr_read_b32 v[vgprValuC+46], acc27 // copy acc to vreg[30]
v_accvgpr_read_b32 v[vgprValuC+47], acc31 // copy acc to vreg[31]
v_accvgpr_read_b32 v[vgprValuC+48], acc32 // copy acc to vreg[32]
v_accvgpr_read_b32 v[vgprValuC+49], acc36 // copy acc to vreg[33]
v_accvgpr_read_b32 v[vgprValuC+50], acc40 // copy acc to vreg[34]
v_accvgpr_read_b32 v[vgprValuC+51], acc44 // copy acc to vreg[35]
v_accvgpr_read_b32 v[vgprValuC+52], acc33 // copy acc to vreg[36]
v_accvgpr_read_b32 v[vgprValuC+53], acc37 // copy acc to vreg[37]
v_accvgpr_read_b32 v[vgprValuC+54], acc41 // copy acc to vreg[38]
v_accvgpr_read_b32 v[vgprValuC+55], acc45 // copy acc to vreg[39]
v_accvgpr_read_b32 v[vgprValuC+56], acc34 // copy acc to vreg[40]
v_accvgpr_read_b32 v[vgprValuC+57], acc38 // copy acc to vreg[41]
v_accvgpr_read_b32 v[vgprValuC+58], acc42 // copy acc to vreg[42]
v_accvgpr_read_b32 v[vgprValuC+59], acc46 // copy acc to vreg[43]
v_accvgpr_read_b32 v[vgprValuC+60], acc35 // copy acc to vreg[44]
v_accvgpr_read_b32 v[vgprValuC+61], acc39 // copy acc to vreg[45]
v_accvgpr_read_b32 v[vgprValuC+62], acc43 // copy acc to vreg[46]
v_accvgpr_read_b32 v[vgprValuC+63], acc47 // copy acc to vreg[47]
v_accvgpr_read_b32 v[vgprValuC+64], acc48 // copy acc to vreg[48]
v_accvgpr_read_b32 v[vgprValuC+65], acc52 // copy acc to vreg[49]
v_accvgpr_read_b32 v[vgprValuC+66], acc56 // copy acc to vreg[50]
v_accvgpr_read_b32 v[vgprValuC+67], acc60 // copy acc to vreg[51]
v_accvgpr_read_b32 v[vgprValuC+68], acc49 // copy acc to vreg[52]
v_accvgpr_read_b32 v[vgprValuC+69], acc53 // copy acc to vreg[53]
v_accvgpr_read_b32 v[vgprValuC+70], acc57 // copy acc to vreg[54]
v_accvgpr_read_b32 v[vgprValuC+71], acc61 // copy acc to vreg[55]
v_accvgpr_read_b32 v[vgprValuC+72], acc50 // copy acc to vreg[56]
v_accvgpr_read_b32 v[vgprValuC+73], acc54 // copy acc to vreg[57]
v_accvgpr_read_b32 v[vgprValuC+74], acc58 // copy acc to vreg[58]
v_accvgpr_read_b32 v[vgprValuC+75], acc62 // copy acc to vreg[59]
v_accvgpr_read_b32 v[vgprValuC+76], acc51 // copy acc to vreg[60]
v_accvgpr_read_b32 v[vgprValuC+77], acc55 // copy acc to vreg[61]
v_accvgpr_read_b32 v[vgprValuC+78], acc59 // copy acc to vreg[62]
v_accvgpr_read_b32 v[vgprValuC+79], acc63 // copy acc to vreg[63]
v_accvgpr_read_b32 v[vgprValuC+80], acc64 // copy acc to vreg[64]
v_accvgpr_read_b32 v[vgprValuC+81], acc68 // copy acc to vreg[65]
v_accvgpr_read_b32 v[vgprValuC+82], acc72 // copy acc to vreg[66]
v_accvgpr_read_b32 v[vgprValuC+83], acc76 // copy acc to vreg[67]
v_accvgpr_read_b32 v[vgprValuC+84], acc65 // copy acc to vreg[68]
v_accvgpr_read_b32 v[vgprValuC+85], acc69 // copy acc to vreg[69]
v_accvgpr_read_b32 v[vgprValuC+86], acc73 // copy acc to vreg[70]
v_accvgpr_read_b32 v[vgprValuC+87], acc77 // copy acc to vreg[71]
v_accvgpr_read_b32 v[vgprValuC+88], acc66 // copy acc to vreg[72]
v_accvgpr_read_b32 v[vgprValuC+89], acc70 // copy acc to vreg[73]
v_accvgpr_read_b32 v[vgprValuC+90], acc74 // copy acc to vreg[74]
v_accvgpr_read_b32 v[vgprValuC+91], acc78 // copy acc to vreg[75]
v_accvgpr_read_b32 v[vgprValuC+92], acc67 // copy acc to vreg[76]
v_accvgpr_read_b32 v[vgprValuC+93], acc71 // copy acc to vreg[77]
v_accvgpr_read_b32 v[vgprValuC+94], acc75 // copy acc to vreg[78]
v_accvgpr_read_b32 v[vgprValuC+95], acc79 // copy acc to vreg[79]
v_accvgpr_read_b32 v[vgprValuC+96], acc80 // copy acc to vreg[80]
v_accvgpr_read_b32 v[vgprValuC+97], acc84 // copy acc to vreg[81]
v_accvgpr_read_b32 v[vgprValuC+98], acc88 // copy acc to vreg[82]
v_accvgpr_read_b32 v[vgprValuC+99], acc92 // copy acc to vreg[83]
v_accvgpr_read_b32 v[vgprValuC+100], acc81 // copy acc to vreg[84]
v_accvgpr_read_b32 v[vgprValuC+101], acc85 // copy acc to vreg[85]
v_accvgpr_read_b32 v[vgprValuC+102], acc89 // copy acc to vreg[86]
v_accvgpr_read_b32 v[vgprValuC+103], acc93 // copy acc to vreg[87]
v_accvgpr_read_b32 v[vgprValuC+104], acc82 // copy acc to vreg[88]
v_accvgpr_read_b32 v[vgprValuC+105], acc86 // copy acc to vreg[89]
v_accvgpr_read_b32 v[vgprValuC+106], acc90 // copy acc to vreg[90]
v_accvgpr_read_b32 v[vgprValuC+107], acc94 // copy acc to vreg[91]
v_accvgpr_read_b32 v[vgprValuC+108], acc83 // copy acc to vreg[92]
v_accvgpr_read_b32 v[vgprValuC+109], acc87 // copy acc to vreg[93]
v_accvgpr_read_b32 v[vgprValuC+110], acc91 // copy acc to vreg[94]
v_accvgpr_read_b32 v[vgprValuC+111], acc95 // copy acc to vreg[95]
v_accvgpr_read_b32 v[vgprValuC+112], acc96 // copy acc to vreg[96]
v_accvgpr_read_b32 v[vgprValuC+113], acc100 // copy acc to vreg[97]
v_accvgpr_read_b32 v[vgprValuC+114], acc104 // copy acc to vreg[98]
v_accvgpr_read_b32 v[vgprValuC+115], acc108 // copy acc to vreg[99]
v_accvgpr_read_b32 v[vgprValuC+116], acc97 // copy acc to vreg[100]
v_accvgpr_read_b32 v[vgprValuC+117], acc101 // copy acc to vreg[101]
v_accvgpr_read_b32 v[vgprValuC+118], acc105 // copy acc to vreg[102]
v_accvgpr_read_b32 v[vgprValuC+119], acc109 // copy acc to vreg[103]
v_accvgpr_read_b32 v[vgprValuC+120], acc98 // copy acc to vreg[104]
v_accvgpr_read_b32 v[vgprValuC+121], acc102 // copy acc to vreg[105]
v_accvgpr_read_b32 v[vgprValuC+122], acc106 // copy acc to vreg[106]
v_accvgpr_read_b32 v[vgprValuC+123], acc110 // copy acc to vreg[107]
v_accvgpr_read_b32 v[vgprValuC+128], acc99 // copy acc to vreg[108]
v_accvgpr_read_b32 v[vgprValuC+129], acc103 // copy acc to vreg[109]
v_accvgpr_read_b32 v[vgprValuC+130], acc107 // copy acc to vreg[110]
v_accvgpr_read_b32 v[vgprValuC+131], acc111 // copy acc to vreg[111]
v_accvgpr_read_b32 v[vgprValuC+132], acc112 // copy acc to vreg[112]
v_accvgpr_read_b32 v[vgprValuC+133], acc116 // copy acc to vreg[113]
v_accvgpr_read_b32 v[vgprValuC+134], acc120 // copy acc to vreg[114]
v_accvgpr_read_b32 v[vgprValuC+135], acc124 // copy acc to vreg[115]
v_accvgpr_read_b32 v[vgprValuC+136], acc113 // copy acc to vreg[116]
v_accvgpr_read_b32 v[vgprValuC+137], acc117 // copy acc to vreg[117]
v_accvgpr_read_b32 v[vgprValuC+138], acc121 // copy acc to vreg[118]
v_accvgpr_read_b32 v[vgprValuC+139], acc125 // copy acc to vreg[119]
v_accvgpr_read_b32 v[vgprValuC+140], acc114 // copy acc to vreg[120]
v_accvgpr_read_b32 v[vgprValuC+141], acc118 // copy acc to vreg[121]
v_accvgpr_read_b32 v[vgprValuC+142], acc122 // copy acc to vreg[122]
v_accvgpr_read_b32 v[vgprValuC+143], acc126 // copy acc to vreg[123]
v_accvgpr_read_b32 v[vgprValuC+144], acc115 // copy acc to vreg[124]
v_accvgpr_read_b32 v[vgprValuC+145], acc119 // copy acc to vreg[125]
v_accvgpr_read_b32 v[vgprValuC+146], acc123 // copy acc to vreg[126]
v_accvgpr_read_b32 v[vgprValuC+147], acc127 // copy acc to vreg[127]
v_accvgpr_read_b32 v[vgprValuC+148], acc128 // copy acc to vreg[128]
v_accvgpr_read_b32 v[vgprValuC+149], acc132 // copy acc to vreg[129]
v_accvgpr_read_b32 v[vgprValuC+150], acc136 // copy acc to vreg[130]
v_accvgpr_read_b32 v[vgprValuC+151], acc140 // copy acc to vreg[131]
v_accvgpr_read_b32 v[vgprValuC+152], acc129 // copy acc to vreg[132]
v_accvgpr_read_b32 v[vgprValuC+153], acc133 // copy acc to vreg[133]
v_accvgpr_read_b32 v[vgprValuC+154], acc137 // copy acc to vreg[134]
v_accvgpr_read_b32 v[vgprValuC+155], acc141 // copy acc to vreg[135]
v_accvgpr_read_b32 v[vgprValuC+156], acc130 // copy acc to vreg[136]
v_accvgpr_read_b32 v[vgprValuC+157], acc134 // copy acc to vreg[137]
v_accvgpr_read_b32 v[vgprValuC+158], acc138 // copy acc to vreg[138]
v_accvgpr_read_b32 v[vgprValuC+159], acc142 // copy acc to vreg[139]
v_accvgpr_read_b32 v[vgprValuC+160], acc131 // copy acc to vreg[140]
v_accvgpr_read_b32 v[vgprValuC+161], acc135 // copy acc to vreg[141]
v_accvgpr_read_b32 v[vgprValuC+162], acc139 // copy acc to vreg[142]
v_accvgpr_read_b32 v[vgprValuC+163], acc143 // copy acc to vreg[143]
v_accvgpr_read_b32 v[vgprValuC+164], acc144 // copy acc to vreg[144]
v_accvgpr_read_b32 v[vgprValuC+165], acc148 // copy acc to vreg[145]
v_accvgpr_read_b32 v[vgprValuC+166], acc152 // copy acc to vreg[146]
v_accvgpr_read_b32 v[vgprValuC+167], acc156 // copy acc to vreg[147]
v_accvgpr_read_b32 v[vgprValuC+168], acc145 // copy acc to vreg[148]
v_accvgpr_read_b32 v[vgprValuC+169], acc149 // copy acc to vreg[149]
v_accvgpr_read_b32 v[vgprValuC+170], acc153 // copy acc to vreg[150]
v_accvgpr_read_b32 v[vgprValuC+171], acc157 // copy acc to vreg[151]
v_accvgpr_read_b32 v[vgprValuC+172], acc146 // copy acc to vreg[152]
v_accvgpr_read_b32 v[vgprValuC+173], acc150 // copy acc to vreg[153]
v_accvgpr_read_b32 v[vgprValuC+174], acc154 // copy acc to vreg[154]
v_accvgpr_read_b32 v[vgprValuC+175], acc158 // copy acc to vreg[155]
v_accvgpr_read_b32 v[vgprValuC+176], acc147 // copy acc to vreg[156]
v_accvgpr_read_b32 v[vgprValuC+177], acc151 // copy acc to vreg[157]
v_accvgpr_read_b32 v[vgprValuC+178], acc155 // copy acc to vreg[158]
v_accvgpr_read_b32 v[vgprValuC+179], acc159 // copy acc to vreg[159]
v_accvgpr_read_b32 v[vgprValuC+180], acc160 // copy acc to vreg[160]
v_accvgpr_read_b32 v[vgprValuC+181], acc164 // copy acc to vreg[161]
v_accvgpr_read_b32 v[vgprValuC+182], acc168 // copy acc to vreg[162]
v_accvgpr_read_b32 v[vgprValuC+183], acc172 // copy acc to vreg[163]
v_accvgpr_read_b32 v[vgprValuC+184], acc161 // copy acc to vreg[164]
v_accvgpr_read_b32 v[vgprValuC+185], acc165 // copy acc to vreg[165]
v_accvgpr_read_b32 v[vgprValuC+186], acc169 // copy acc to vreg[166]
v_accvgpr_read_b32 v[vgprValuC+187], acc173 // copy acc to vreg[167]
v_accvgpr_read_b32 v[vgprValuC+188], acc162 // copy acc to vreg[168]
v_accvgpr_read_b32 v[vgprValuC+189], acc166 // copy acc to vreg[169]
v_accvgpr_read_b32 v[vgprValuC+190], acc170 // copy acc to vreg[170]
v_accvgpr_read_b32 v[vgprValuC+191], acc174 // copy acc to vreg[171]
v_accvgpr_read_b32 v[vgprValuC+192], acc163 // copy acc to vreg[172]
v_accvgpr_read_b32 v[vgprValuC+193], acc167 // copy acc to vreg[173]
v_accvgpr_read_b32 v[vgprValuC+194], acc171 // copy acc to vreg[174]
v_accvgpr_read_b32 v[vgprValuC+195], acc175 // copy acc to vreg[175]
v_accvgpr_read_b32 v[vgprValuC+196], acc176 // copy acc to vreg[176]
v_accvgpr_read_b32 v[vgprValuC+197], acc180 // copy acc to vreg[177]
v_accvgpr_read_b32 v[vgprValuC+198], acc184 // copy acc to vreg[178]
v_accvgpr_read_b32 v[vgprValuC+199], acc188 // copy acc to vreg[179]
v_accvgpr_read_b32 v[vgprValuC+200], acc177 // copy acc to vreg[180]
v_accvgpr_read_b32 v[vgprValuC+201], acc181 // copy acc to vreg[181]
v_accvgpr_read_b32 v[vgprValuC+202], acc185 // copy acc to vreg[182]
v_accvgpr_read_b32 v[vgprValuC+203], acc189 // copy acc to vreg[183]
v_accvgpr_read_b32 v[vgprValuC+204], acc178 // copy acc to vreg[184]
v_accvgpr_read_b32 v[vgprValuC+205], acc182 // copy acc to vreg[185]
v_accvgpr_read_b32 v[vgprValuC+206], acc186 // copy acc to vreg[186]
v_accvgpr_read_b32 v[vgprValuC+207], acc190 // copy acc to vreg[187]
v_accvgpr_read_b32 v[vgprValuC+208], acc179 // copy acc to vreg[188]
v_accvgpr_read_b32 v[vgprValuC+209], acc183 // copy acc to vreg[189]
v_accvgpr_read_b32 v[vgprValuC+210], acc187 // copy acc to vreg[190]
v_accvgpr_read_b32 v[vgprValuC+211], acc191 // copy acc to vreg[191]
v_accvgpr_read_b32 v[vgprValuC+212], acc192 // copy acc to vreg[192]
v_accvgpr_read_b32 v[vgprValuC+213], acc196 // copy acc to vreg[193]
v_accvgpr_read_b32 v[vgprValuC+214], acc200 // copy acc to vreg[194]
v_accvgpr_read_b32 v[vgprValuC+215], acc204 // copy acc to vreg[195]
v_accvgpr_read_b32 v[vgprValuC+216], acc193 // copy acc to vreg[196]
v_accvgpr_read_b32 v[vgprValuC+217], acc197 // copy acc to vreg[197]
v_accvgpr_read_b32 v[vgprValuC+218], acc201 // copy acc to vreg[198]
v_accvgpr_read_b32 v[vgprValuC+219], acc205 // copy acc to vreg[199]
v_accvgpr_read_b32 v[vgprValuC+220], acc194 // copy acc to vreg[200]
v_accvgpr_read_b32 v[vgprValuC+221], acc198 // copy acc to vreg[201]
v_accvgpr_read_b32 v[vgprValuC+222], acc202 // copy acc to vreg[202]
v_accvgpr_read_b32 v[vgprValuC+223], acc206 // copy acc to vreg[203]
v_accvgpr_read_b32 v[vgprValuC+224], acc195 // copy acc to vreg[204]
v_accvgpr_read_b32 v[vgprValuC+225], acc199 // copy acc to vreg[205]
v_accvgpr_read_b32 v[vgprValuC+226], acc203 // copy acc to vreg[206]
v_accvgpr_read_b32 v[vgprValuC+227], acc207 // copy acc to vreg[207]
v_accvgpr_read_b32 v[vgprValuC+228], acc208 // copy acc to vreg[208]
v_accvgpr_read_b32 v[vgprValuC+229], acc212 // copy acc to vreg[209]
v_accvgpr_read_b32 v[vgprValuC+230], acc216 // copy acc to vreg[210]
v_accvgpr_read_b32 v[vgprValuC+231], acc220 // copy acc to vreg[211]
v_accvgpr_read_b32 v[vgprValuC+232], acc209 // copy acc to vreg[212]
v_accvgpr_read_b32 v[vgprValuC+233], acc213 // copy acc to vreg[213]
v_accvgpr_read_b32 v[vgprValuC+234], acc217 // copy acc to vreg[214]
v_accvgpr_read_b32 v[vgprValuC+235], acc221 // copy acc to vreg[215]
v_accvgpr_read_b32 v[vgprValuC+236], acc210 // copy acc to vreg[216]
v_accvgpr_read_b32 v[vgprValuC+237], acc214 // copy acc to vreg[217]
v_accvgpr_read_b32 v[vgprValuC+238], acc218 // copy acc to vreg[218]
v_accvgpr_read_b32 v[vgprValuC+239], acc222 // copy acc to vreg[219]
v_accvgpr_read_b32 v[vgprValuC+240], acc211 // copy acc to vreg[220]
v_accvgpr_read_b32 v[vgprValuC+241], acc215 // copy acc to vreg[221]
v_accvgpr_read_b32 v[vgprValuC+242], acc219 // copy acc to vreg[222]
v_accvgpr_read_b32 v[vgprValuC+243], acc223 // copy acc to vreg[223]
v_accvgpr_read_b32 v[vgprValuC+244], acc224 // copy acc to vreg[224]
v_accvgpr_read_b32 v[vgprValuC+245], acc228 // copy acc to vreg[225]
v_accvgpr_read_b32 v[vgprValuC+246], acc232 // copy acc to vreg[226]
v_accvgpr_read_b32 v[vgprValuC+247], acc236 // copy acc to vreg[227]
v_accvgpr_read_b32 v[vgprValuC+248], acc225 // copy acc to vreg[228]
v_accvgpr_read_b32 v[vgprValuC+249], acc229 // copy acc to vreg[229]
v_accvgpr_read_b32 v[vgprValuC+250], acc233 // copy acc to vreg[230]
v_accvgpr_read_b32 v[vgprValuC+251], acc237 // copy acc to vreg[231]
v_accvgpr_read_b32 v[vgprValuC+252], acc226 // copy acc to vreg[232]
v_accvgpr_read_b32 v[vgprValuC+253], acc230 // copy acc to vreg[233]
v_accvgpr_read_b32 v[vgprValuC+254], acc234 // copy acc to vreg[234]
v_accvgpr_read_b32 v[vgprValuC+255], acc238 // copy acc to vreg[235]
s_nop 1                                            // 2 wait states required before reading vgpr

/* rC *= alpha batchElements=[(0, 0, 0, 0), (0, 0, 1, 0), (0, 0, 2, 0), (0, 0, 3, 0), (1, 0, 0, 0), (1, 0, 1, 0), (1, 0, 2, 0), (1, 0, 3, 0), (2, 0, 0, 0), (2, 0, 1, 0), (2, 0, 2, 0), (2, 0, 3, 0), (3, 0, 0, 0), (3, 0, 1, 0), (3, 0, 2, 0), (3, 0, 3, 0), (4, 0, 0, 0), (4, 0, 1, 0), (4, 0, 2, 0), (4, 0, 3, 0), (5, 0, 0, 0), (5, 0, 1, 0), (5, 0, 2, 0), (5, 0, 3, 0), (6, 0, 0, 0), (6, 0, 1, 0), (6, 0, 2, 0), (6, 0, 3, 0), (7, 0, 0, 0), (7, 0, 1, 0), (7, 0, 2, 0), (7, 0, 3, 0), (8, 0, 0, 0), (8, 0, 1, 0), (8, 0, 2, 0), (8, 0, 3, 0), (9, 0, 0, 0), (9, 0, 1, 0), (9, 0, 2, 0), (9, 0, 3, 0), (10, 0, 0, 0), (10, 0, 1, 0), (10, 0, 2, 0), (10, 0, 3, 0), (11, 0, 0, 0), (11, 0, 1, 0), (11, 0, 2, 0), (11, 0, 3, 0), (12, 0, 0, 0), (12, 0, 1, 0), (12, 0, 2, 0), (12, 0, 3, 0), (13, 0, 0, 0), (13, 0, 1, 0), (13, 0, 2, 0), (13, 0, 3, 0), (14, 0, 0, 0), (14, 0, 1, 0), (14, 0, 2, 0)] */
v_mul_f32 v[vgprValuC+16], s[sgprAlpha], v[vgprValuC+16] // *= alpha
v_mul_f32 v[vgprValuC+17], s[sgprAlpha], v[vgprValuC+17] // *= alpha
	;; [unrolled: 1-line block ×236, first 2 shown]

/* apply mask, calc new C and issue writes */
v_mov_b32 v10, 0x207                               // flag for Nan and +/- inf
v_mov_b32 v8, 0x47600000                           // save 57344.0f as max for clipping
v_mov_b32 v9, 0xC7600000                           // save -57344`.0f as min for clipping
v_cmp_class_f32 s[54:55], v[vgprValuC+16], v10     // check NaN and +/-INF
v_med3_f32 v6, v[vgprValuC+16], v8, v9             // Clipping f32 value if exceeds the limit
v_cndmask_b32 v6, v6, v[vgprValuC+16], s[54:55]    // 
v_cmp_class_f32 s[54:55], v[vgprValuC+17], v10     // check NaN and +/-INF
v_med3_f32 v7, v[vgprValuC+17], v8, v9             // Clipping f32 value if exceeds the limit
v_cndmask_b32 v7, v7, v[vgprValuC+17], s[54:55]    // 
v_cvt_pk_bf8_f32  v16, v6, v7 op_sel:[0,0,0]       // convert two f32 accumulated values to fp8 and save it to lo_16[0:15]
v_cmp_class_f32 s[54:55], v[vgprValuC+18], v10     // check NaN and +/-INF
v_med3_f32 v6, v[vgprValuC+18], v8, v9             // Clipping f32 value if exceeds the limit
v_cndmask_b32 v6, v6, v[vgprValuC+18], s[54:55]    // 
v_cmp_class_f32 s[54:55], v[vgprValuC+19], v10     // check NaN and +/-INF
v_med3_f32 v7, v[vgprValuC+19], v8, v9             // Clipping f32 value if exceeds the limit
v_cndmask_b32 v7, v7, v[vgprValuC+19], s[54:55]    // 
v_cvt_pk_bf8_f32  v16, v6, v7 op_sel:[0,0,1]       // convert two f32 accumulated values to fp8 and save it to hi_16[16:31]
_buffer_store_b32 v16, v11, s[sgprSrdD:sgprSrdD+3], 0, offen, offset:0,  sc0 sc1 // store D
v_cmp_class_f32 s[54:55], v[vgprValuC+20], v10     // check NaN and +/-INF
v_med3_f32 v6, v[vgprValuC+20], v8, v9             // Clipping f32 value if exceeds the limit
v_cndmask_b32 v6, v6, v[vgprValuC+20], s[54:55]    // 
v_cmp_class_f32 s[54:55], v[vgprValuC+21], v10     // check NaN and +/-INF
v_med3_f32 v7, v[vgprValuC+21], v8, v9             // Clipping f32 value if exceeds the limit
v_cndmask_b32 v7, v7, v[vgprValuC+21], s[54:55]    // 
v_cvt_pk_bf8_f32  v20, v6, v7 op_sel:[0,0,0]       // convert two f32 accumulated values to fp8 and save it to lo_16[0:15]
v_cmp_class_f32 s[54:55], v[vgprValuC+22], v10     // check NaN and +/-INF
v_med3_f32 v6, v[vgprValuC+22], v8, v9             // Clipping f32 value if exceeds the limit
v_cndmask_b32 v6, v6, v[vgprValuC+22], s[54:55]    // 
v_cmp_class_f32 s[54:55], v[vgprValuC+23], v10     // check NaN and +/-INF
v_med3_f32 v7, v[vgprValuC+23], v8, v9             // Clipping f32 value if exceeds the limit
v_cndmask_b32 v7, v7, v[vgprValuC+23], s[54:55]    // 
v_cvt_pk_bf8_f32  v20, v6, v7 op_sel:[0,0,1]       // convert two f32 accumulated values to fp8 and save it to hi_16[16:31]
s_lshl_b32  s54, s[sgprStrideD1J], 0               // incToNextRow: Scale by BPE
s_add_u32  s[sgprSrdD+0], s[sgprSrdD+0], s54       // incToNextRow: gra SRD += inc(lower)
s_addc_u32  s[sgprSrdD+1], s[sgprSrdD+1], 0        // incToNextRow: gra SRD += inc(upper)
_buffer_store_b32 v20, v11, s[sgprSrdD:sgprSrdD+3], 0, offen, offset:0,  sc0 sc1 // store D
v_cmp_class_f32 s[54:55], v[vgprValuC+24], v10     // check NaN and +/-INF
v_med3_f32 v6, v[vgprValuC+24], v8, v9             // Clipping f32 value if exceeds the limit
v_cndmask_b32 v6, v6, v[vgprValuC+24], s[54:55]    // 
v_cmp_class_f32 s[54:55], v[vgprValuC+25], v10     // check NaN and +/-INF
v_med3_f32 v7, v[vgprValuC+25], v8, v9             // Clipping f32 value if exceeds the limit
v_cndmask_b32 v7, v7, v[vgprValuC+25], s[54:55]    // 
v_cvt_pk_bf8_f32  v24, v6, v7 op_sel:[0,0,0]       // convert two f32 accumulated values to fp8 and save it to lo_16[0:15]
v_cmp_class_f32 s[54:55], v[vgprValuC+26], v10     // check NaN and +/-INF
v_med3_f32 v6, v[vgprValuC+26], v8, v9             // Clipping f32 value if exceeds the limit
v_cndmask_b32 v6, v6, v[vgprValuC+26], s[54:55]    // 
v_cmp_class_f32 s[54:55], v[vgprValuC+27], v10     // check NaN and +/-INF
v_med3_f32 v7, v[vgprValuC+27], v8, v9             // Clipping f32 value if exceeds the limit
v_cndmask_b32 v7, v7, v[vgprValuC+27], s[54:55]    // 
v_cvt_pk_bf8_f32  v24, v6, v7 op_sel:[0,0,1]       // convert two f32 accumulated values to fp8 and save it to hi_16[16:31]
s_lshl_b32  s54, s[sgprStrideD1J], 0               // incToNextRow: Scale by BPE
s_add_u32  s[sgprSrdD+0], s[sgprSrdD+0], s54       // incToNextRow: gra SRD += inc(lower)
s_addc_u32  s[sgprSrdD+1], s[sgprSrdD+1], 0        // incToNextRow: gra SRD += inc(upper)
	;; [unrolled: 18-line block ×3, first 2 shown]
_buffer_store_b32 v28, v11, s[sgprSrdD:sgprSrdD+3], 0, offen, offset:0,  sc0 sc1 // store D
v_cmp_class_f32 s[54:55], v[vgprValuC+32], v10     // check NaN and +/-INF
v_med3_f32 v6, v[vgprValuC+32], v8, v9             // Clipping f32 value if exceeds the limit
v_cndmask_b32 v6, v6, v[vgprValuC+32], s[54:55]    // 
v_cmp_class_f32 s[54:55], v[vgprValuC+33], v10     // check NaN and +/-INF
v_med3_f32 v7, v[vgprValuC+33], v8, v9             // Clipping f32 value if exceeds the limit
v_cndmask_b32 v7, v7, v[vgprValuC+33], s[54:55]    // 
v_cvt_pk_bf8_f32  v32, v6, v7 op_sel:[0,0,0]       // convert two f32 accumulated values to fp8 and save it to lo_16[0:15]
v_cmp_class_f32 s[54:55], v[vgprValuC+34], v10     // check NaN and +/-INF
v_med3_f32 v6, v[vgprValuC+34], v8, v9             // Clipping f32 value if exceeds the limit
v_cndmask_b32 v6, v6, v[vgprValuC+34], s[54:55]    // 
v_cmp_class_f32 s[54:55], v[vgprValuC+35], v10     // check NaN and +/-INF
v_med3_f32 v7, v[vgprValuC+35], v8, v9             // Clipping f32 value if exceeds the limit
v_cndmask_b32 v7, v7, v[vgprValuC+35], s[54:55]    // 
v_cvt_pk_bf8_f32  v32, v6, v7 op_sel:[0,0,1]       // convert two f32 accumulated values to fp8 and save it to hi_16[16:31]
s_mul_i32 s54, s[sgprStrideD1J], 13                // scale StrideD *= numRows(13) * bpe
s_add_u32  s[sgprSrdD+0], s[sgprSrdD+0], s54       // incToNextRow: gra SRD += inc(lower)
s_addc_u32  s[sgprSrdD+1], s[sgprSrdD+1], 0        // incToNextRow: gra SRD += inc(upper)
_buffer_store_b32 v32, v11, s[sgprSrdD:sgprSrdD+3], 0, offen, offset:0,  sc0 sc1 // store D
v_cmp_class_f32 s[54:55], v[vgprValuC+36], v10     // check NaN and +/-INF
v_med3_f32 v6, v[vgprValuC+36], v8, v9             // Clipping f32 value if exceeds the limit
v_cndmask_b32 v6, v6, v[vgprValuC+36], s[54:55]    // 
v_cmp_class_f32 s[54:55], v[vgprValuC+37], v10     // check NaN and +/-INF
v_med3_f32 v7, v[vgprValuC+37], v8, v9             // Clipping f32 value if exceeds the limit
v_cndmask_b32 v7, v7, v[vgprValuC+37], s[54:55]    // 
v_cvt_pk_bf8_f32  v36, v6, v7 op_sel:[0,0,0]       // convert two f32 accumulated values to fp8 and save it to lo_16[0:15]
v_cmp_class_f32 s[54:55], v[vgprValuC+38], v10     // check NaN and +/-INF
v_med3_f32 v6, v[vgprValuC+38], v8, v9             // Clipping f32 value if exceeds the limit
v_cndmask_b32 v6, v6, v[vgprValuC+38], s[54:55]    // 
v_cmp_class_f32 s[54:55], v[vgprValuC+39], v10     // check NaN and +/-INF
v_med3_f32 v7, v[vgprValuC+39], v8, v9             // Clipping f32 value if exceeds the limit
v_cndmask_b32 v7, v7, v[vgprValuC+39], s[54:55]    // 
v_cvt_pk_bf8_f32  v36, v6, v7 op_sel:[0,0,1]       // convert two f32 accumulated values to fp8 and save it to hi_16[16:31]
s_lshl_b32  s54, s[sgprStrideD1J], 0               // incToNextRow: Scale by BPE
s_add_u32  s[sgprSrdD+0], s[sgprSrdD+0], s54       // incToNextRow: gra SRD += inc(lower)
s_addc_u32  s[sgprSrdD+1], s[sgprSrdD+1], 0        // incToNextRow: gra SRD += inc(upper)
_buffer_store_b32 v36, v11, s[sgprSrdD:sgprSrdD+3], 0, offen, offset:0,  sc0 sc1 // store D
v_cmp_class_f32 s[54:55], v[vgprValuC+40], v10     // check NaN and +/-INF
v_med3_f32 v6, v[vgprValuC+40], v8, v9             // Clipping f32 value if exceeds the limit
v_cndmask_b32 v6, v6, v[vgprValuC+40], s[54:55]    // 
v_cmp_class_f32 s[54:55], v[vgprValuC+41], v10     // check NaN and +/-INF
v_med3_f32 v7, v[vgprValuC+41], v8, v9             // Clipping f32 value if exceeds the limit
v_cndmask_b32 v7, v7, v[vgprValuC+41], s[54:55]    // 
v_cvt_pk_bf8_f32  v40, v6, v7 op_sel:[0,0,0]       // convert two f32 accumulated values to fp8 and save it to lo_16[0:15]
v_cmp_class_f32 s[54:55], v[vgprValuC+42], v10     // check NaN and +/-INF
v_med3_f32 v6, v[vgprValuC+42], v8, v9             // Clipping f32 value if exceeds the limit
v_cndmask_b32 v6, v6, v[vgprValuC+42], s[54:55]    // 
v_cmp_class_f32 s[54:55], v[vgprValuC+43], v10     // check NaN and +/-INF
v_med3_f32 v7, v[vgprValuC+43], v8, v9             // Clipping f32 value if exceeds the limit
v_cndmask_b32 v7, v7, v[vgprValuC+43], s[54:55]    // 
v_cvt_pk_bf8_f32  v40, v6, v7 op_sel:[0,0,1]       // convert two f32 accumulated values to fp8 and save it to hi_16[16:31]
s_lshl_b32  s54, s[sgprStrideD1J], 0               // incToNextRow: Scale by BPE
s_add_u32  s[sgprSrdD+0], s[sgprSrdD+0], s54       // incToNextRow: gra SRD += inc(lower)
s_addc_u32  s[sgprSrdD+1], s[sgprSrdD+1], 0        // incToNextRow: gra SRD += inc(upper)
_buffer_store_b32 v40, v11, s[sgprSrdD:sgprSrdD+3], 0, offen, offset:0,  sc0 sc1 // store D
v_cmp_class_f32 s[54:55], v[vgprValuC+44], v10     // check NaN and +/-INF
v_med3_f32 v6, v[vgprValuC+44], v8, v9             // Clipping f32 value if exceeds the limit
v_cndmask_b32 v6, v6, v[vgprValuC+44], s[54:55]    // 
v_cmp_class_f32 s[54:55], v[vgprValuC+45], v10     // check NaN and +/-INF
v_med3_f32 v7, v[vgprValuC+45], v8, v9             // Clipping f32 value if exceeds the limit
v_cndmask_b32 v7, v7, v[vgprValuC+45], s[54:55]    // 
v_cvt_pk_bf8_f32  v44, v6, v7 op_sel:[0,0,0]       // convert two f32 accumulated values to fp8 and save it to lo_16[0:15]
v_cmp_class_f32 s[54:55], v[vgprValuC+46], v10     // check NaN and +/-INF
v_med3_f32 v6, v[vgprValuC+46], v8, v9             // Clipping f32 value if exceeds the limit
v_cndmask_b32 v6, v6, v[vgprValuC+46], s[54:55]    // 
v_cmp_class_f32 s[54:55], v[vgprValuC+47], v10     // check NaN and +/-INF
v_med3_f32 v7, v[vgprValuC+47], v8, v9             // Clipping f32 value if exceeds the limit
v_cndmask_b32 v7, v7, v[vgprValuC+47], s[54:55]    // 
v_cvt_pk_bf8_f32  v44, v6, v7 op_sel:[0,0,1]       // convert two f32 accumulated values to fp8 and save it to hi_16[16:31]
s_lshl_b32  s54, s[sgprStrideD1J], 0               // incToNextRow: Scale by BPE
s_add_u32  s[sgprSrdD+0], s[sgprSrdD+0], s54       // incToNextRow: gra SRD += inc(lower)
s_addc_u32  s[sgprSrdD+1], s[sgprSrdD+1], 0        // incToNextRow: gra SRD += inc(upper)
_buffer_store_b32 v44, v11, s[sgprSrdD:sgprSrdD+3], 0, offen, offset:0,  sc0 sc1 // store D
v_cmp_class_f32 s[54:55], v[vgprValuC+48], v10     // check NaN and +/-INF
v_med3_f32 v6, v[vgprValuC+48], v8, v9             // Clipping f32 value if exceeds the limit
v_cndmask_b32 v6, v6, v[vgprValuC+48], s[54:55]    // 
v_cmp_class_f32 s[54:55], v[vgprValuC+49], v10     // check NaN and +/-INF
v_med3_f32 v7, v[vgprValuC+49], v8, v9             // Clipping f32 value if exceeds the limit
v_cndmask_b32 v7, v7, v[vgprValuC+49], s[54:55]    // 
v_cvt_pk_bf8_f32  v48, v6, v7 op_sel:[0,0,0]       // convert two f32 accumulated values to fp8 and save it to lo_16[0:15]
v_cmp_class_f32 s[54:55], v[vgprValuC+50], v10     // check NaN and +/-INF
v_med3_f32 v6, v[vgprValuC+50], v8, v9             // Clipping f32 value if exceeds the limit
v_cndmask_b32 v6, v6, v[vgprValuC+50], s[54:55]    // 
v_cmp_class_f32 s[54:55], v[vgprValuC+51], v10     // check NaN and +/-INF
v_med3_f32 v7, v[vgprValuC+51], v8, v9             // Clipping f32 value if exceeds the limit
v_cndmask_b32 v7, v7, v[vgprValuC+51], s[54:55]    // 
v_cvt_pk_bf8_f32  v48, v6, v7 op_sel:[0,0,1]       // convert two f32 accumulated values to fp8 and save it to hi_16[16:31]
s_mul_i32 s54, s[sgprStrideD1J], 13                // scale StrideD *= numRows(13) * bpe
s_add_u32  s[sgprSrdD+0], s[sgprSrdD+0], s54       // incToNextRow: gra SRD += inc(lower)
s_addc_u32  s[sgprSrdD+1], s[sgprSrdD+1], 0        // incToNextRow: gra SRD += inc(upper)
_buffer_store_b32 v48, v11, s[sgprSrdD:sgprSrdD+3], 0, offen, offset:0,  sc0 sc1 // store D
v_cmp_class_f32 s[54:55], v[vgprValuC+52], v10     // check NaN and +/-INF
v_med3_f32 v6, v[vgprValuC+52], v8, v9             // Clipping f32 value if exceeds the limit
v_cndmask_b32 v6, v6, v[vgprValuC+52], s[54:55]    // 
v_cmp_class_f32 s[54:55], v[vgprValuC+53], v10     // check NaN and +/-INF
v_med3_f32 v7, v[vgprValuC+53], v8, v9             // Clipping f32 value if exceeds the limit
v_cndmask_b32 v7, v7, v[vgprValuC+53], s[54:55]    // 
v_cvt_pk_bf8_f32  v52, v6, v7 op_sel:[0,0,0]       // convert two f32 accumulated values to fp8 and save it to lo_16[0:15]
v_cmp_class_f32 s[54:55], v[vgprValuC+54], v10     // check NaN and +/-INF
v_med3_f32 v6, v[vgprValuC+54], v8, v9             // Clipping f32 value if exceeds the limit
v_cndmask_b32 v6, v6, v[vgprValuC+54], s[54:55]    // 
v_cmp_class_f32 s[54:55], v[vgprValuC+55], v10     // check NaN and +/-INF
v_med3_f32 v7, v[vgprValuC+55], v8, v9             // Clipping f32 value if exceeds the limit
v_cndmask_b32 v7, v7, v[vgprValuC+55], s[54:55]    // 
v_cvt_pk_bf8_f32  v52, v6, v7 op_sel:[0,0,1]       // convert two f32 accumulated values to fp8 and save it to hi_16[16:31]
s_lshl_b32  s54, s[sgprStrideD1J], 0               // incToNextRow: Scale by BPE
s_add_u32  s[sgprSrdD+0], s[sgprSrdD+0], s54       // incToNextRow: gra SRD += inc(lower)
s_addc_u32  s[sgprSrdD+1], s[sgprSrdD+1], 0        // incToNextRow: gra SRD += inc(upper)
_buffer_store_b32 v52, v11, s[sgprSrdD:sgprSrdD+3], 0, offen, offset:0,  sc0 sc1 // store D
v_cmp_class_f32 s[54:55], v[vgprValuC+56], v10     // check NaN and +/-INF
v_med3_f32 v6, v[vgprValuC+56], v8, v9             // Clipping f32 value if exceeds the limit
v_cndmask_b32 v6, v6, v[vgprValuC+56], s[54:55]    // 
v_cmp_class_f32 s[54:55], v[vgprValuC+57], v10     // check NaN and +/-INF
v_med3_f32 v7, v[vgprValuC+57], v8, v9             // Clipping f32 value if exceeds the limit
v_cndmask_b32 v7, v7, v[vgprValuC+57], s[54:55]    // 
v_cvt_pk_bf8_f32  v56, v6, v7 op_sel:[0,0,0]       // convert two f32 accumulated values to fp8 and save it to lo_16[0:15]
v_cmp_class_f32 s[54:55], v[vgprValuC+58], v10     // check NaN and +/-INF
v_med3_f32 v6, v[vgprValuC+58], v8, v9             // Clipping f32 value if exceeds the limit
v_cndmask_b32 v6, v6, v[vgprValuC+58], s[54:55]    // 
v_cmp_class_f32 s[54:55], v[vgprValuC+59], v10     // check NaN and +/-INF
v_med3_f32 v7, v[vgprValuC+59], v8, v9             // Clipping f32 value if exceeds the limit
v_cndmask_b32 v7, v7, v[vgprValuC+59], s[54:55]    // 
v_cvt_pk_bf8_f32  v56, v6, v7 op_sel:[0,0,1]       // convert two f32 accumulated values to fp8 and save it to hi_16[16:31]
s_lshl_b32  s54, s[sgprStrideD1J], 0               // incToNextRow: Scale by BPE
	;; [unrolled: 18-line block ×3, first 2 shown]
s_add_u32  s[sgprSrdD+0], s[sgprSrdD+0], s54       // incToNextRow: gra SRD += inc(lower)
s_addc_u32  s[sgprSrdD+1], s[sgprSrdD+1], 0        // incToNextRow: gra SRD += inc(upper)
_buffer_store_b32 v60, v11, s[sgprSrdD:sgprSrdD+3], 0, offen, offset:0,  sc0 sc1 // store D
v_cmp_class_f32 s[54:55], v[vgprValuC+64], v10     // check NaN and +/-INF
v_med3_f32 v6, v[vgprValuC+64], v8, v9             // Clipping f32 value if exceeds the limit
v_cndmask_b32 v6, v6, v[vgprValuC+64], s[54:55]    // 
v_cmp_class_f32 s[54:55], v[vgprValuC+65], v10     // check NaN and +/-INF
v_med3_f32 v7, v[vgprValuC+65], v8, v9             // Clipping f32 value if exceeds the limit
v_cndmask_b32 v7, v7, v[vgprValuC+65], s[54:55]    // 
v_cvt_pk_bf8_f32  v64, v6, v7 op_sel:[0,0,0]       // convert two f32 accumulated values to fp8 and save it to lo_16[0:15]
v_cmp_class_f32 s[54:55], v[vgprValuC+66], v10     // check NaN and +/-INF
v_med3_f32 v6, v[vgprValuC+66], v8, v9             // Clipping f32 value if exceeds the limit
v_cndmask_b32 v6, v6, v[vgprValuC+66], s[54:55]    // 
v_cmp_class_f32 s[54:55], v[vgprValuC+67], v10     // check NaN and +/-INF
v_med3_f32 v7, v[vgprValuC+67], v8, v9             // Clipping f32 value if exceeds the limit
v_cndmask_b32 v7, v7, v[vgprValuC+67], s[54:55]    // 
v_cvt_pk_bf8_f32  v64, v6, v7 op_sel:[0,0,1]       // convert two f32 accumulated values to fp8 and save it to hi_16[16:31]
s_mul_i32 s54, s[sgprStrideD1J], 13                // scale StrideD *= numRows(13) * bpe
s_add_u32  s[sgprSrdD+0], s[sgprSrdD+0], s54       // incToNextRow: gra SRD += inc(lower)
s_addc_u32  s[sgprSrdD+1], s[sgprSrdD+1], 0        // incToNextRow: gra SRD += inc(upper)
_buffer_store_b32 v64, v11, s[sgprSrdD:sgprSrdD+3], 0, offen, offset:0,  sc0 sc1 // store D
v_cmp_class_f32 s[54:55], v[vgprValuC+68], v10     // check NaN and +/-INF
v_med3_f32 v6, v[vgprValuC+68], v8, v9             // Clipping f32 value if exceeds the limit
v_cndmask_b32 v6, v6, v[vgprValuC+68], s[54:55]    // 
v_cmp_class_f32 s[54:55], v[vgprValuC+69], v10     // check NaN and +/-INF
v_med3_f32 v7, v[vgprValuC+69], v8, v9             // Clipping f32 value if exceeds the limit
v_cndmask_b32 v7, v7, v[vgprValuC+69], s[54:55]    // 
v_cvt_pk_bf8_f32  v68, v6, v7 op_sel:[0,0,0]       // convert two f32 accumulated values to fp8 and save it to lo_16[0:15]
v_cmp_class_f32 s[54:55], v[vgprValuC+70], v10     // check NaN and +/-INF
v_med3_f32 v6, v[vgprValuC+70], v8, v9             // Clipping f32 value if exceeds the limit
v_cndmask_b32 v6, v6, v[vgprValuC+70], s[54:55]    // 
v_cmp_class_f32 s[54:55], v[vgprValuC+71], v10     // check NaN and +/-INF
v_med3_f32 v7, v[vgprValuC+71], v8, v9             // Clipping f32 value if exceeds the limit
v_cndmask_b32 v7, v7, v[vgprValuC+71], s[54:55]    // 
v_cvt_pk_bf8_f32  v68, v6, v7 op_sel:[0,0,1]       // convert two f32 accumulated values to fp8 and save it to hi_16[16:31]
s_lshl_b32  s54, s[sgprStrideD1J], 0               // incToNextRow: Scale by BPE
s_add_u32  s[sgprSrdD+0], s[sgprSrdD+0], s54       // incToNextRow: gra SRD += inc(lower)
s_addc_u32  s[sgprSrdD+1], s[sgprSrdD+1], 0        // incToNextRow: gra SRD += inc(upper)
_buffer_store_b32 v68, v11, s[sgprSrdD:sgprSrdD+3], 0, offen, offset:0,  sc0 sc1 // store D
v_cmp_class_f32 s[54:55], v[vgprValuC+72], v10     // check NaN and +/-INF
v_med3_f32 v6, v[vgprValuC+72], v8, v9             // Clipping f32 value if exceeds the limit
v_cndmask_b32 v6, v6, v[vgprValuC+72], s[54:55]    // 
v_cmp_class_f32 s[54:55], v[vgprValuC+73], v10     // check NaN and +/-INF
v_med3_f32 v7, v[vgprValuC+73], v8, v9             // Clipping f32 value if exceeds the limit
v_cndmask_b32 v7, v7, v[vgprValuC+73], s[54:55]    // 
v_cvt_pk_bf8_f32  v72, v6, v7 op_sel:[0,0,0]       // convert two f32 accumulated values to fp8 and save it to lo_16[0:15]
v_cmp_class_f32 s[54:55], v[vgprValuC+74], v10     // check NaN and +/-INF
v_med3_f32 v6, v[vgprValuC+74], v8, v9             // Clipping f32 value if exceeds the limit
v_cndmask_b32 v6, v6, v[vgprValuC+74], s[54:55]    // 
v_cmp_class_f32 s[54:55], v[vgprValuC+75], v10     // check NaN and +/-INF
v_med3_f32 v7, v[vgprValuC+75], v8, v9             // Clipping f32 value if exceeds the limit
v_cndmask_b32 v7, v7, v[vgprValuC+75], s[54:55]    // 
v_cvt_pk_bf8_f32  v72, v6, v7 op_sel:[0,0,1]       // convert two f32 accumulated values to fp8 and save it to hi_16[16:31]
s_lshl_b32  s54, s[sgprStrideD1J], 0               // incToNextRow: Scale by BPE
	;; [unrolled: 18-line block ×3, first 2 shown]
s_add_u32  s[sgprSrdD+0], s[sgprSrdD+0], s54       // incToNextRow: gra SRD += inc(lower)
s_addc_u32  s[sgprSrdD+1], s[sgprSrdD+1], 0        // incToNextRow: gra SRD += inc(upper)
_buffer_store_b32 v76, v11, s[sgprSrdD:sgprSrdD+3], 0, offen, offset:0,  sc0 sc1 // store D
v_cmp_class_f32 s[54:55], v[vgprValuC+80], v10     // check NaN and +/-INF
v_med3_f32 v6, v[vgprValuC+80], v8, v9             // Clipping f32 value if exceeds the limit
v_cndmask_b32 v6, v6, v[vgprValuC+80], s[54:55]    // 
v_cmp_class_f32 s[54:55], v[vgprValuC+81], v10     // check NaN and +/-INF
v_med3_f32 v7, v[vgprValuC+81], v8, v9             // Clipping f32 value if exceeds the limit
v_cndmask_b32 v7, v7, v[vgprValuC+81], s[54:55]    // 
v_cvt_pk_bf8_f32  v80, v6, v7 op_sel:[0,0,0]       // convert two f32 accumulated values to fp8 and save it to lo_16[0:15]
v_cmp_class_f32 s[54:55], v[vgprValuC+82], v10     // check NaN and +/-INF
v_med3_f32 v6, v[vgprValuC+82], v8, v9             // Clipping f32 value if exceeds the limit
v_cndmask_b32 v6, v6, v[vgprValuC+82], s[54:55]    // 
v_cmp_class_f32 s[54:55], v[vgprValuC+83], v10     // check NaN and +/-INF
v_med3_f32 v7, v[vgprValuC+83], v8, v9             // Clipping f32 value if exceeds the limit
v_cndmask_b32 v7, v7, v[vgprValuC+83], s[54:55]    // 
v_cvt_pk_bf8_f32  v80, v6, v7 op_sel:[0,0,1]       // convert two f32 accumulated values to fp8 and save it to hi_16[16:31]
s_mul_i32 s54, s[sgprStrideD1J], 13                // scale StrideD *= numRows(13) * bpe
s_add_u32  s[sgprSrdD+0], s[sgprSrdD+0], s54       // incToNextRow: gra SRD += inc(lower)
s_addc_u32  s[sgprSrdD+1], s[sgprSrdD+1], 0        // incToNextRow: gra SRD += inc(upper)
_buffer_store_b32 v80, v11, s[sgprSrdD:sgprSrdD+3], 0, offen, offset:0,  sc0 sc1 // store D
v_cmp_class_f32 s[54:55], v[vgprValuC+84], v10     // check NaN and +/-INF
v_med3_f32 v6, v[vgprValuC+84], v8, v9             // Clipping f32 value if exceeds the limit
v_cndmask_b32 v6, v6, v[vgprValuC+84], s[54:55]    // 
v_cmp_class_f32 s[54:55], v[vgprValuC+85], v10     // check NaN and +/-INF
v_med3_f32 v7, v[vgprValuC+85], v8, v9             // Clipping f32 value if exceeds the limit
v_cndmask_b32 v7, v7, v[vgprValuC+85], s[54:55]    // 
v_cvt_pk_bf8_f32  v84, v6, v7 op_sel:[0,0,0]       // convert two f32 accumulated values to fp8 and save it to lo_16[0:15]
v_cmp_class_f32 s[54:55], v[vgprValuC+86], v10     // check NaN and +/-INF
v_med3_f32 v6, v[vgprValuC+86], v8, v9             // Clipping f32 value if exceeds the limit
v_cndmask_b32 v6, v6, v[vgprValuC+86], s[54:55]    // 
v_cmp_class_f32 s[54:55], v[vgprValuC+87], v10     // check NaN and +/-INF
v_med3_f32 v7, v[vgprValuC+87], v8, v9             // Clipping f32 value if exceeds the limit
v_cndmask_b32 v7, v7, v[vgprValuC+87], s[54:55]    // 
v_cvt_pk_bf8_f32  v84, v6, v7 op_sel:[0,0,1]       // convert two f32 accumulated values to fp8 and save it to hi_16[16:31]
s_lshl_b32  s54, s[sgprStrideD1J], 0               // incToNextRow: Scale by BPE
s_add_u32  s[sgprSrdD+0], s[sgprSrdD+0], s54       // incToNextRow: gra SRD += inc(lower)
s_addc_u32  s[sgprSrdD+1], s[sgprSrdD+1], 0        // incToNextRow: gra SRD += inc(upper)
_buffer_store_b32 v84, v11, s[sgprSrdD:sgprSrdD+3], 0, offen, offset:0,  sc0 sc1 // store D
v_cmp_class_f32 s[54:55], v[vgprValuC+88], v10     // check NaN and +/-INF
v_med3_f32 v6, v[vgprValuC+88], v8, v9             // Clipping f32 value if exceeds the limit
v_cndmask_b32 v6, v6, v[vgprValuC+88], s[54:55]    // 
v_cmp_class_f32 s[54:55], v[vgprValuC+89], v10     // check NaN and +/-INF
v_med3_f32 v7, v[vgprValuC+89], v8, v9             // Clipping f32 value if exceeds the limit
v_cndmask_b32 v7, v7, v[vgprValuC+89], s[54:55]    // 
v_cvt_pk_bf8_f32  v88, v6, v7 op_sel:[0,0,0]       // convert two f32 accumulated values to fp8 and save it to lo_16[0:15]
v_cmp_class_f32 s[54:55], v[vgprValuC+90], v10     // check NaN and +/-INF
v_med3_f32 v6, v[vgprValuC+90], v8, v9             // Clipping f32 value if exceeds the limit
v_cndmask_b32 v6, v6, v[vgprValuC+90], s[54:55]    // 
v_cmp_class_f32 s[54:55], v[vgprValuC+91], v10     // check NaN and +/-INF
v_med3_f32 v7, v[vgprValuC+91], v8, v9             // Clipping f32 value if exceeds the limit
v_cndmask_b32 v7, v7, v[vgprValuC+91], s[54:55]    // 
v_cvt_pk_bf8_f32  v88, v6, v7 op_sel:[0,0,1]       // convert two f32 accumulated values to fp8 and save it to hi_16[16:31]
s_lshl_b32  s54, s[sgprStrideD1J], 0               // incToNextRow: Scale by BPE
	;; [unrolled: 18-line block ×3, first 2 shown]
s_add_u32  s[sgprSrdD+0], s[sgprSrdD+0], s54       // incToNextRow: gra SRD += inc(lower)
s_addc_u32  s[sgprSrdD+1], s[sgprSrdD+1], 0        // incToNextRow: gra SRD += inc(upper)
_buffer_store_b32 v92, v11, s[sgprSrdD:sgprSrdD+3], 0, offen, offset:0,  sc0 sc1 // store D
v_cmp_class_f32 s[54:55], v[vgprValuC+96], v10     // check NaN and +/-INF
v_med3_f32 v6, v[vgprValuC+96], v8, v9             // Clipping f32 value if exceeds the limit
v_cndmask_b32 v6, v6, v[vgprValuC+96], s[54:55]    // 
v_cmp_class_f32 s[54:55], v[vgprValuC+97], v10     // check NaN and +/-INF
v_med3_f32 v7, v[vgprValuC+97], v8, v9             // Clipping f32 value if exceeds the limit
v_cndmask_b32 v7, v7, v[vgprValuC+97], s[54:55]    // 
v_cvt_pk_bf8_f32  v96, v6, v7 op_sel:[0,0,0]       // convert two f32 accumulated values to fp8 and save it to lo_16[0:15]
v_cmp_class_f32 s[54:55], v[vgprValuC+98], v10     // check NaN and +/-INF
v_med3_f32 v6, v[vgprValuC+98], v8, v9             // Clipping f32 value if exceeds the limit
v_cndmask_b32 v6, v6, v[vgprValuC+98], s[54:55]    // 
v_cmp_class_f32 s[54:55], v[vgprValuC+99], v10     // check NaN and +/-INF
v_med3_f32 v7, v[vgprValuC+99], v8, v9             // Clipping f32 value if exceeds the limit
v_cndmask_b32 v7, v7, v[vgprValuC+99], s[54:55]    // 
v_cvt_pk_bf8_f32  v96, v6, v7 op_sel:[0,0,1]       // convert two f32 accumulated values to fp8 and save it to hi_16[16:31]
s_mul_i32 s54, s[sgprStrideD1J], 13                // scale StrideD *= numRows(13) * bpe
s_add_u32  s[sgprSrdD+0], s[sgprSrdD+0], s54       // incToNextRow: gra SRD += inc(lower)
s_addc_u32  s[sgprSrdD+1], s[sgprSrdD+1], 0        // incToNextRow: gra SRD += inc(upper)
_buffer_store_b32 v96, v11, s[sgprSrdD:sgprSrdD+3], 0, offen, offset:0,  sc0 sc1 // store D
v_cmp_class_f32 s[54:55], v[vgprValuC+100], v10    // check NaN and +/-INF
v_med3_f32 v6, v[vgprValuC+100], v8, v9            // Clipping f32 value if exceeds the limit
v_cndmask_b32 v6, v6, v[vgprValuC+100], s[54:55]   // 
v_cmp_class_f32 s[54:55], v[vgprValuC+101], v10    // check NaN and +/-INF
v_med3_f32 v7, v[vgprValuC+101], v8, v9            // Clipping f32 value if exceeds the limit
v_cndmask_b32 v7, v7, v[vgprValuC+101], s[54:55]   // 
v_cvt_pk_bf8_f32  v100, v6, v7 op_sel:[0,0,0]      // convert two f32 accumulated values to fp8 and save it to lo_16[0:15]
v_cmp_class_f32 s[54:55], v[vgprValuC+102], v10    // check NaN and +/-INF
v_med3_f32 v6, v[vgprValuC+102], v8, v9            // Clipping f32 value if exceeds the limit
v_cndmask_b32 v6, v6, v[vgprValuC+102], s[54:55]   // 
v_cmp_class_f32 s[54:55], v[vgprValuC+103], v10    // check NaN and +/-INF
v_med3_f32 v7, v[vgprValuC+103], v8, v9            // Clipping f32 value if exceeds the limit
v_cndmask_b32 v7, v7, v[vgprValuC+103], s[54:55]   // 
v_cvt_pk_bf8_f32  v100, v6, v7 op_sel:[0,0,1]      // convert two f32 accumulated values to fp8 and save it to hi_16[16:31]
s_lshl_b32  s54, s[sgprStrideD1J], 0               // incToNextRow: Scale by BPE
s_add_u32  s[sgprSrdD+0], s[sgprSrdD+0], s54       // incToNextRow: gra SRD += inc(lower)
s_addc_u32  s[sgprSrdD+1], s[sgprSrdD+1], 0        // incToNextRow: gra SRD += inc(upper)
_buffer_store_b32 v100, v11, s[sgprSrdD:sgprSrdD+3], 0, offen, offset:0,  sc0 sc1 // store D
v_cmp_class_f32 s[54:55], v[vgprValuC+104], v10    // check NaN and +/-INF
v_med3_f32 v6, v[vgprValuC+104], v8, v9            // Clipping f32 value if exceeds the limit
v_cndmask_b32 v6, v6, v[vgprValuC+104], s[54:55]   // 
v_cmp_class_f32 s[54:55], v[vgprValuC+105], v10    // check NaN and +/-INF
v_med3_f32 v7, v[vgprValuC+105], v8, v9            // Clipping f32 value if exceeds the limit
v_cndmask_b32 v7, v7, v[vgprValuC+105], s[54:55]   // 
v_cvt_pk_bf8_f32  v104, v6, v7 op_sel:[0,0,0]      // convert two f32 accumulated values to fp8 and save it to lo_16[0:15]
v_cmp_class_f32 s[54:55], v[vgprValuC+106], v10    // check NaN and +/-INF
v_med3_f32 v6, v[vgprValuC+106], v8, v9            // Clipping f32 value if exceeds the limit
v_cndmask_b32 v6, v6, v[vgprValuC+106], s[54:55]   // 
v_cmp_class_f32 s[54:55], v[vgprValuC+107], v10    // check NaN and +/-INF
v_med3_f32 v7, v[vgprValuC+107], v8, v9            // Clipping f32 value if exceeds the limit
v_cndmask_b32 v7, v7, v[vgprValuC+107], s[54:55]   // 
v_cvt_pk_bf8_f32  v104, v6, v7 op_sel:[0,0,1]      // convert two f32 accumulated values to fp8 and save it to hi_16[16:31]
s_lshl_b32  s54, s[sgprStrideD1J], 0               // incToNextRow: Scale by BPE
	;; [unrolled: 18-line block ×3, first 2 shown]
s_add_u32  s[sgprSrdD+0], s[sgprSrdD+0], s54       // incToNextRow: gra SRD += inc(lower)
s_addc_u32  s[sgprSrdD+1], s[sgprSrdD+1], 0        // incToNextRow: gra SRD += inc(upper)
_buffer_store_b32 v108, v11, s[sgprSrdD:sgprSrdD+3], 0, offen, offset:0,  sc0 sc1 // store D
v_cmp_class_f32 s[54:55], v[vgprValuC+112], v10    // check NaN and +/-INF
v_med3_f32 v6, v[vgprValuC+112], v8, v9            // Clipping f32 value if exceeds the limit
v_cndmask_b32 v6, v6, v[vgprValuC+112], s[54:55]   // 
v_cmp_class_f32 s[54:55], v[vgprValuC+113], v10    // check NaN and +/-INF
v_med3_f32 v7, v[vgprValuC+113], v8, v9            // Clipping f32 value if exceeds the limit
v_cndmask_b32 v7, v7, v[vgprValuC+113], s[54:55]   // 
v_cvt_pk_bf8_f32  v112, v6, v7 op_sel:[0,0,0]      // convert two f32 accumulated values to fp8 and save it to lo_16[0:15]
v_cmp_class_f32 s[54:55], v[vgprValuC+114], v10    // check NaN and +/-INF
v_med3_f32 v6, v[vgprValuC+114], v8, v9            // Clipping f32 value if exceeds the limit
v_cndmask_b32 v6, v6, v[vgprValuC+114], s[54:55]   // 
v_cmp_class_f32 s[54:55], v[vgprValuC+115], v10    // check NaN and +/-INF
v_med3_f32 v7, v[vgprValuC+115], v8, v9            // Clipping f32 value if exceeds the limit
v_cndmask_b32 v7, v7, v[vgprValuC+115], s[54:55]   // 
v_cvt_pk_bf8_f32  v112, v6, v7 op_sel:[0,0,1]      // convert two f32 accumulated values to fp8 and save it to hi_16[16:31]
s_mul_i32 s54, s[sgprStrideD1J], 13                // scale StrideD *= numRows(13) * bpe
s_add_u32  s[sgprSrdD+0], s[sgprSrdD+0], s54       // incToNextRow: gra SRD += inc(lower)
s_addc_u32  s[sgprSrdD+1], s[sgprSrdD+1], 0        // incToNextRow: gra SRD += inc(upper)
_buffer_store_b32 v112, v11, s[sgprSrdD:sgprSrdD+3], 0, offen, offset:0,  sc0 sc1 // store D
v_cmp_class_f32 s[54:55], v[vgprValuC+116], v10    // check NaN and +/-INF
v_med3_f32 v6, v[vgprValuC+116], v8, v9            // Clipping f32 value if exceeds the limit
v_cndmask_b32 v6, v6, v[vgprValuC+116], s[54:55]   // 
v_cmp_class_f32 s[54:55], v[vgprValuC+117], v10    // check NaN and +/-INF
v_med3_f32 v7, v[vgprValuC+117], v8, v9            // Clipping f32 value if exceeds the limit
v_cndmask_b32 v7, v7, v[vgprValuC+117], s[54:55]   // 
v_cvt_pk_bf8_f32  v116, v6, v7 op_sel:[0,0,0]      // convert two f32 accumulated values to fp8 and save it to lo_16[0:15]
v_cmp_class_f32 s[54:55], v[vgprValuC+118], v10    // check NaN and +/-INF
v_med3_f32 v6, v[vgprValuC+118], v8, v9            // Clipping f32 value if exceeds the limit
v_cndmask_b32 v6, v6, v[vgprValuC+118], s[54:55]   // 
v_cmp_class_f32 s[54:55], v[vgprValuC+119], v10    // check NaN and +/-INF
v_med3_f32 v7, v[vgprValuC+119], v8, v9            // Clipping f32 value if exceeds the limit
v_cndmask_b32 v7, v7, v[vgprValuC+119], s[54:55]   // 
v_cvt_pk_bf8_f32  v116, v6, v7 op_sel:[0,0,1]      // convert two f32 accumulated values to fp8 and save it to hi_16[16:31]
s_lshl_b32  s54, s[sgprStrideD1J], 0               // incToNextRow: Scale by BPE
s_add_u32  s[sgprSrdD+0], s[sgprSrdD+0], s54       // incToNextRow: gra SRD += inc(lower)
s_addc_u32  s[sgprSrdD+1], s[sgprSrdD+1], 0        // incToNextRow: gra SRD += inc(upper)
_buffer_store_b32 v116, v11, s[sgprSrdD:sgprSrdD+3], 0, offen, offset:0,  sc0 sc1 // store D
v_cmp_class_f32 s[54:55], v[vgprValuC+120], v10    // check NaN and +/-INF
v_med3_f32 v6, v[vgprValuC+120], v8, v9            // Clipping f32 value if exceeds the limit
v_cndmask_b32 v6, v6, v[vgprValuC+120], s[54:55]   // 
v_cmp_class_f32 s[54:55], v[vgprValuC+121], v10    // check NaN and +/-INF
v_med3_f32 v7, v[vgprValuC+121], v8, v9            // Clipping f32 value if exceeds the limit
v_cndmask_b32 v7, v7, v[vgprValuC+121], s[54:55]   // 
v_cvt_pk_bf8_f32  v120, v6, v7 op_sel:[0,0,0]      // convert two f32 accumulated values to fp8 and save it to lo_16[0:15]
v_cmp_class_f32 s[54:55], v[vgprValuC+122], v10    // check NaN and +/-INF
v_med3_f32 v6, v[vgprValuC+122], v8, v9            // Clipping f32 value if exceeds the limit
v_cndmask_b32 v6, v6, v[vgprValuC+122], s[54:55]   // 
v_cmp_class_f32 s[54:55], v[vgprValuC+123], v10    // check NaN and +/-INF
v_med3_f32 v7, v[vgprValuC+123], v8, v9            // Clipping f32 value if exceeds the limit
v_cndmask_b32 v7, v7, v[vgprValuC+123], s[54:55]   // 
v_cvt_pk_bf8_f32  v120, v6, v7 op_sel:[0,0,1]      // convert two f32 accumulated values to fp8 and save it to hi_16[16:31]
s_lshl_b32  s54, s[sgprStrideD1J], 0               // incToNextRow: Scale by BPE
	;; [unrolled: 18-line block ×3, first 2 shown]
s_add_u32  s[sgprSrdD+0], s[sgprSrdD+0], s54       // incToNextRow: gra SRD += inc(lower)
s_addc_u32  s[sgprSrdD+1], s[sgprSrdD+1], 0        // incToNextRow: gra SRD += inc(upper)
_buffer_store_b32 v128, v11, s[sgprSrdD:sgprSrdD+3], 0, offen, offset:0,  sc0 sc1 // store D
v_cmp_class_f32 s[54:55], v[vgprValuC+132], v10    // check NaN and +/-INF
v_med3_f32 v6, v[vgprValuC+132], v8, v9            // Clipping f32 value if exceeds the limit
v_cndmask_b32 v6, v6, v[vgprValuC+132], s[54:55]   // 
v_cmp_class_f32 s[54:55], v[vgprValuC+133], v10    // check NaN and +/-INF
v_med3_f32 v7, v[vgprValuC+133], v8, v9            // Clipping f32 value if exceeds the limit
v_cndmask_b32 v7, v7, v[vgprValuC+133], s[54:55]   // 
v_cvt_pk_bf8_f32  v132, v6, v7 op_sel:[0,0,0]      // convert two f32 accumulated values to fp8 and save it to lo_16[0:15]
v_cmp_class_f32 s[54:55], v[vgprValuC+134], v10    // check NaN and +/-INF
v_med3_f32 v6, v[vgprValuC+134], v8, v9            // Clipping f32 value if exceeds the limit
v_cndmask_b32 v6, v6, v[vgprValuC+134], s[54:55]   // 
v_cmp_class_f32 s[54:55], v[vgprValuC+135], v10    // check NaN and +/-INF
v_med3_f32 v7, v[vgprValuC+135], v8, v9            // Clipping f32 value if exceeds the limit
v_cndmask_b32 v7, v7, v[vgprValuC+135], s[54:55]   // 
v_cvt_pk_bf8_f32  v132, v6, v7 op_sel:[0,0,1]      // convert two f32 accumulated values to fp8 and save it to hi_16[16:31]
s_mul_i32 s54, s[sgprStrideD1J], 13                // scale StrideD *= numRows(13) * bpe
s_add_u32  s[sgprSrdD+0], s[sgprSrdD+0], s54       // incToNextRow: gra SRD += inc(lower)
s_addc_u32  s[sgprSrdD+1], s[sgprSrdD+1], 0        // incToNextRow: gra SRD += inc(upper)
_buffer_store_b32 v132, v11, s[sgprSrdD:sgprSrdD+3], 0, offen, offset:0,  sc0 sc1 // store D
v_cmp_class_f32 s[54:55], v[vgprValuC+136], v10    // check NaN and +/-INF
v_med3_f32 v6, v[vgprValuC+136], v8, v9            // Clipping f32 value if exceeds the limit
v_cndmask_b32 v6, v6, v[vgprValuC+136], s[54:55]   // 
v_cmp_class_f32 s[54:55], v[vgprValuC+137], v10    // check NaN and +/-INF
v_med3_f32 v7, v[vgprValuC+137], v8, v9            // Clipping f32 value if exceeds the limit
v_cndmask_b32 v7, v7, v[vgprValuC+137], s[54:55]   // 
v_cvt_pk_bf8_f32  v136, v6, v7 op_sel:[0,0,0]      // convert two f32 accumulated values to fp8 and save it to lo_16[0:15]
v_cmp_class_f32 s[54:55], v[vgprValuC+138], v10    // check NaN and +/-INF
v_med3_f32 v6, v[vgprValuC+138], v8, v9            // Clipping f32 value if exceeds the limit
v_cndmask_b32 v6, v6, v[vgprValuC+138], s[54:55]   // 
v_cmp_class_f32 s[54:55], v[vgprValuC+139], v10    // check NaN and +/-INF
v_med3_f32 v7, v[vgprValuC+139], v8, v9            // Clipping f32 value if exceeds the limit
v_cndmask_b32 v7, v7, v[vgprValuC+139], s[54:55]   // 
v_cvt_pk_bf8_f32  v136, v6, v7 op_sel:[0,0,1]      // convert two f32 accumulated values to fp8 and save it to hi_16[16:31]
s_lshl_b32  s54, s[sgprStrideD1J], 0               // incToNextRow: Scale by BPE
s_add_u32  s[sgprSrdD+0], s[sgprSrdD+0], s54       // incToNextRow: gra SRD += inc(lower)
s_addc_u32  s[sgprSrdD+1], s[sgprSrdD+1], 0        // incToNextRow: gra SRD += inc(upper)
_buffer_store_b32 v136, v11, s[sgprSrdD:sgprSrdD+3], 0, offen, offset:0,  sc0 sc1 // store D
v_cmp_class_f32 s[54:55], v[vgprValuC+140], v10    // check NaN and +/-INF
v_med3_f32 v6, v[vgprValuC+140], v8, v9            // Clipping f32 value if exceeds the limit
v_cndmask_b32 v6, v6, v[vgprValuC+140], s[54:55]   // 
v_cmp_class_f32 s[54:55], v[vgprValuC+141], v10    // check NaN and +/-INF
v_med3_f32 v7, v[vgprValuC+141], v8, v9            // Clipping f32 value if exceeds the limit
v_cndmask_b32 v7, v7, v[vgprValuC+141], s[54:55]   // 
v_cvt_pk_bf8_f32  v140, v6, v7 op_sel:[0,0,0]      // convert two f32 accumulated values to fp8 and save it to lo_16[0:15]
v_cmp_class_f32 s[54:55], v[vgprValuC+142], v10    // check NaN and +/-INF
v_med3_f32 v6, v[vgprValuC+142], v8, v9            // Clipping f32 value if exceeds the limit
v_cndmask_b32 v6, v6, v[vgprValuC+142], s[54:55]   // 
v_cmp_class_f32 s[54:55], v[vgprValuC+143], v10    // check NaN and +/-INF
v_med3_f32 v7, v[vgprValuC+143], v8, v9            // Clipping f32 value if exceeds the limit
v_cndmask_b32 v7, v7, v[vgprValuC+143], s[54:55]   // 
v_cvt_pk_bf8_f32  v140, v6, v7 op_sel:[0,0,1]      // convert two f32 accumulated values to fp8 and save it to hi_16[16:31]
s_lshl_b32  s54, s[sgprStrideD1J], 0               // incToNextRow: Scale by BPE
	;; [unrolled: 18-line block ×3, first 2 shown]
s_add_u32  s[sgprSrdD+0], s[sgprSrdD+0], s54       // incToNextRow: gra SRD += inc(lower)
s_addc_u32  s[sgprSrdD+1], s[sgprSrdD+1], 0        // incToNextRow: gra SRD += inc(upper)
_buffer_store_b32 v144, v11, s[sgprSrdD:sgprSrdD+3], 0, offen, offset:0,  sc0 sc1 // store D
v_cmp_class_f32 s[54:55], v[vgprValuC+148], v10    // check NaN and +/-INF
v_med3_f32 v6, v[vgprValuC+148], v8, v9            // Clipping f32 value if exceeds the limit
v_cndmask_b32 v6, v6, v[vgprValuC+148], s[54:55]   // 
v_cmp_class_f32 s[54:55], v[vgprValuC+149], v10    // check NaN and +/-INF
v_med3_f32 v7, v[vgprValuC+149], v8, v9            // Clipping f32 value if exceeds the limit
v_cndmask_b32 v7, v7, v[vgprValuC+149], s[54:55]   // 
v_cvt_pk_bf8_f32  v148, v6, v7 op_sel:[0,0,0]      // convert two f32 accumulated values to fp8 and save it to lo_16[0:15]
v_cmp_class_f32 s[54:55], v[vgprValuC+150], v10    // check NaN and +/-INF
v_med3_f32 v6, v[vgprValuC+150], v8, v9            // Clipping f32 value if exceeds the limit
v_cndmask_b32 v6, v6, v[vgprValuC+150], s[54:55]   // 
v_cmp_class_f32 s[54:55], v[vgprValuC+151], v10    // check NaN and +/-INF
v_med3_f32 v7, v[vgprValuC+151], v8, v9            // Clipping f32 value if exceeds the limit
v_cndmask_b32 v7, v7, v[vgprValuC+151], s[54:55]   // 
v_cvt_pk_bf8_f32  v148, v6, v7 op_sel:[0,0,1]      // convert two f32 accumulated values to fp8 and save it to hi_16[16:31]
s_mul_i32 s54, s[sgprStrideD1J], 13                // scale StrideD *= numRows(13) * bpe
s_add_u32  s[sgprSrdD+0], s[sgprSrdD+0], s54       // incToNextRow: gra SRD += inc(lower)
s_addc_u32  s[sgprSrdD+1], s[sgprSrdD+1], 0        // incToNextRow: gra SRD += inc(upper)
_buffer_store_b32 v148, v11, s[sgprSrdD:sgprSrdD+3], 0, offen, offset:0,  sc0 sc1 // store D
v_cmp_class_f32 s[54:55], v[vgprValuC+152], v10    // check NaN and +/-INF
v_med3_f32 v6, v[vgprValuC+152], v8, v9            // Clipping f32 value if exceeds the limit
v_cndmask_b32 v6, v6, v[vgprValuC+152], s[54:55]   // 
v_cmp_class_f32 s[54:55], v[vgprValuC+153], v10    // check NaN and +/-INF
v_med3_f32 v7, v[vgprValuC+153], v8, v9            // Clipping f32 value if exceeds the limit
v_cndmask_b32 v7, v7, v[vgprValuC+153], s[54:55]   // 
v_cvt_pk_bf8_f32  v152, v6, v7 op_sel:[0,0,0]      // convert two f32 accumulated values to fp8 and save it to lo_16[0:15]
v_cmp_class_f32 s[54:55], v[vgprValuC+154], v10    // check NaN and +/-INF
v_med3_f32 v6, v[vgprValuC+154], v8, v9            // Clipping f32 value if exceeds the limit
v_cndmask_b32 v6, v6, v[vgprValuC+154], s[54:55]   // 
v_cmp_class_f32 s[54:55], v[vgprValuC+155], v10    // check NaN and +/-INF
v_med3_f32 v7, v[vgprValuC+155], v8, v9            // Clipping f32 value if exceeds the limit
v_cndmask_b32 v7, v7, v[vgprValuC+155], s[54:55]   // 
v_cvt_pk_bf8_f32  v152, v6, v7 op_sel:[0,0,1]      // convert two f32 accumulated values to fp8 and save it to hi_16[16:31]
s_lshl_b32  s54, s[sgprStrideD1J], 0               // incToNextRow: Scale by BPE
s_add_u32  s[sgprSrdD+0], s[sgprSrdD+0], s54       // incToNextRow: gra SRD += inc(lower)
s_addc_u32  s[sgprSrdD+1], s[sgprSrdD+1], 0        // incToNextRow: gra SRD += inc(upper)
_buffer_store_b32 v152, v11, s[sgprSrdD:sgprSrdD+3], 0, offen, offset:0,  sc0 sc1 // store D
v_cmp_class_f32 s[54:55], v[vgprValuC+156], v10    // check NaN and +/-INF
v_med3_f32 v6, v[vgprValuC+156], v8, v9            // Clipping f32 value if exceeds the limit
v_cndmask_b32 v6, v6, v[vgprValuC+156], s[54:55]   // 
v_cmp_class_f32 s[54:55], v[vgprValuC+157], v10    // check NaN and +/-INF
v_med3_f32 v7, v[vgprValuC+157], v8, v9            // Clipping f32 value if exceeds the limit
v_cndmask_b32 v7, v7, v[vgprValuC+157], s[54:55]   // 
v_cvt_pk_bf8_f32  v156, v6, v7 op_sel:[0,0,0]      // convert two f32 accumulated values to fp8 and save it to lo_16[0:15]
v_cmp_class_f32 s[54:55], v[vgprValuC+158], v10    // check NaN and +/-INF
v_med3_f32 v6, v[vgprValuC+158], v8, v9            // Clipping f32 value if exceeds the limit
v_cndmask_b32 v6, v6, v[vgprValuC+158], s[54:55]   // 
v_cmp_class_f32 s[54:55], v[vgprValuC+159], v10    // check NaN and +/-INF
v_med3_f32 v7, v[vgprValuC+159], v8, v9            // Clipping f32 value if exceeds the limit
v_cndmask_b32 v7, v7, v[vgprValuC+159], s[54:55]   // 
v_cvt_pk_bf8_f32  v156, v6, v7 op_sel:[0,0,1]      // convert two f32 accumulated values to fp8 and save it to hi_16[16:31]
s_lshl_b32  s54, s[sgprStrideD1J], 0               // incToNextRow: Scale by BPE
	;; [unrolled: 18-line block ×3, first 2 shown]
s_add_u32  s[sgprSrdD+0], s[sgprSrdD+0], s54       // incToNextRow: gra SRD += inc(lower)
s_addc_u32  s[sgprSrdD+1], s[sgprSrdD+1], 0        // incToNextRow: gra SRD += inc(upper)
_buffer_store_b32 v160, v11, s[sgprSrdD:sgprSrdD+3], 0, offen, offset:0,  sc0 sc1 // store D
v_cmp_class_f32 s[54:55], v[vgprValuC+164], v10    // check NaN and +/-INF
v_med3_f32 v6, v[vgprValuC+164], v8, v9            // Clipping f32 value if exceeds the limit
v_cndmask_b32 v6, v6, v[vgprValuC+164], s[54:55]   // 
v_cmp_class_f32 s[54:55], v[vgprValuC+165], v10    // check NaN and +/-INF
v_med3_f32 v7, v[vgprValuC+165], v8, v9            // Clipping f32 value if exceeds the limit
v_cndmask_b32 v7, v7, v[vgprValuC+165], s[54:55]   // 
v_cvt_pk_bf8_f32  v164, v6, v7 op_sel:[0,0,0]      // convert two f32 accumulated values to fp8 and save it to lo_16[0:15]
v_cmp_class_f32 s[54:55], v[vgprValuC+166], v10    // check NaN and +/-INF
v_med3_f32 v6, v[vgprValuC+166], v8, v9            // Clipping f32 value if exceeds the limit
v_cndmask_b32 v6, v6, v[vgprValuC+166], s[54:55]   // 
v_cmp_class_f32 s[54:55], v[vgprValuC+167], v10    // check NaN and +/-INF
v_med3_f32 v7, v[vgprValuC+167], v8, v9            // Clipping f32 value if exceeds the limit
v_cndmask_b32 v7, v7, v[vgprValuC+167], s[54:55]   // 
v_cvt_pk_bf8_f32  v164, v6, v7 op_sel:[0,0,1]      // convert two f32 accumulated values to fp8 and save it to hi_16[16:31]
s_mul_i32 s54, s[sgprStrideD1J], 13                // scale StrideD *= numRows(13) * bpe
s_add_u32  s[sgprSrdD+0], s[sgprSrdD+0], s54       // incToNextRow: gra SRD += inc(lower)
s_addc_u32  s[sgprSrdD+1], s[sgprSrdD+1], 0        // incToNextRow: gra SRD += inc(upper)
_buffer_store_b32 v164, v11, s[sgprSrdD:sgprSrdD+3], 0, offen, offset:0,  sc0 sc1 // store D
v_cmp_class_f32 s[54:55], v[vgprValuC+168], v10    // check NaN and +/-INF
v_med3_f32 v6, v[vgprValuC+168], v8, v9            // Clipping f32 value if exceeds the limit
v_cndmask_b32 v6, v6, v[vgprValuC+168], s[54:55]   // 
v_cmp_class_f32 s[54:55], v[vgprValuC+169], v10    // check NaN and +/-INF
v_med3_f32 v7, v[vgprValuC+169], v8, v9            // Clipping f32 value if exceeds the limit
v_cndmask_b32 v7, v7, v[vgprValuC+169], s[54:55]   // 
v_cvt_pk_bf8_f32  v168, v6, v7 op_sel:[0,0,0]      // convert two f32 accumulated values to fp8 and save it to lo_16[0:15]
v_cmp_class_f32 s[54:55], v[vgprValuC+170], v10    // check NaN and +/-INF
v_med3_f32 v6, v[vgprValuC+170], v8, v9            // Clipping f32 value if exceeds the limit
v_cndmask_b32 v6, v6, v[vgprValuC+170], s[54:55]   // 
v_cmp_class_f32 s[54:55], v[vgprValuC+171], v10    // check NaN and +/-INF
v_med3_f32 v7, v[vgprValuC+171], v8, v9            // Clipping f32 value if exceeds the limit
v_cndmask_b32 v7, v7, v[vgprValuC+171], s[54:55]   // 
v_cvt_pk_bf8_f32  v168, v6, v7 op_sel:[0,0,1]      // convert two f32 accumulated values to fp8 and save it to hi_16[16:31]
s_lshl_b32  s54, s[sgprStrideD1J], 0               // incToNextRow: Scale by BPE
s_add_u32  s[sgprSrdD+0], s[sgprSrdD+0], s54       // incToNextRow: gra SRD += inc(lower)
s_addc_u32  s[sgprSrdD+1], s[sgprSrdD+1], 0        // incToNextRow: gra SRD += inc(upper)
_buffer_store_b32 v168, v11, s[sgprSrdD:sgprSrdD+3], 0, offen, offset:0,  sc0 sc1 // store D
v_cmp_class_f32 s[54:55], v[vgprValuC+172], v10    // check NaN and +/-INF
v_med3_f32 v6, v[vgprValuC+172], v8, v9            // Clipping f32 value if exceeds the limit
v_cndmask_b32 v6, v6, v[vgprValuC+172], s[54:55]   // 
v_cmp_class_f32 s[54:55], v[vgprValuC+173], v10    // check NaN and +/-INF
v_med3_f32 v7, v[vgprValuC+173], v8, v9            // Clipping f32 value if exceeds the limit
v_cndmask_b32 v7, v7, v[vgprValuC+173], s[54:55]   // 
v_cvt_pk_bf8_f32  v172, v6, v7 op_sel:[0,0,0]      // convert two f32 accumulated values to fp8 and save it to lo_16[0:15]
v_cmp_class_f32 s[54:55], v[vgprValuC+174], v10    // check NaN and +/-INF
v_med3_f32 v6, v[vgprValuC+174], v8, v9            // Clipping f32 value if exceeds the limit
v_cndmask_b32 v6, v6, v[vgprValuC+174], s[54:55]   // 
v_cmp_class_f32 s[54:55], v[vgprValuC+175], v10    // check NaN and +/-INF
v_med3_f32 v7, v[vgprValuC+175], v8, v9            // Clipping f32 value if exceeds the limit
v_cndmask_b32 v7, v7, v[vgprValuC+175], s[54:55]   // 
v_cvt_pk_bf8_f32  v172, v6, v7 op_sel:[0,0,1]      // convert two f32 accumulated values to fp8 and save it to hi_16[16:31]
s_lshl_b32  s54, s[sgprStrideD1J], 0               // incToNextRow: Scale by BPE
	;; [unrolled: 18-line block ×3, first 2 shown]
s_add_u32  s[sgprSrdD+0], s[sgprSrdD+0], s54       // incToNextRow: gra SRD += inc(lower)
s_addc_u32  s[sgprSrdD+1], s[sgprSrdD+1], 0        // incToNextRow: gra SRD += inc(upper)
_buffer_store_b32 v176, v11, s[sgprSrdD:sgprSrdD+3], 0, offen, offset:0,  sc0 sc1 // store D
v_cmp_class_f32 s[54:55], v[vgprValuC+180], v10    // check NaN and +/-INF
v_med3_f32 v6, v[vgprValuC+180], v8, v9            // Clipping f32 value if exceeds the limit
v_cndmask_b32 v6, v6, v[vgprValuC+180], s[54:55]   // 
v_cmp_class_f32 s[54:55], v[vgprValuC+181], v10    // check NaN and +/-INF
v_med3_f32 v7, v[vgprValuC+181], v8, v9            // Clipping f32 value if exceeds the limit
v_cndmask_b32 v7, v7, v[vgprValuC+181], s[54:55]   // 
v_cvt_pk_bf8_f32  v180, v6, v7 op_sel:[0,0,0]      // convert two f32 accumulated values to fp8 and save it to lo_16[0:15]
v_cmp_class_f32 s[54:55], v[vgprValuC+182], v10    // check NaN and +/-INF
v_med3_f32 v6, v[vgprValuC+182], v8, v9            // Clipping f32 value if exceeds the limit
v_cndmask_b32 v6, v6, v[vgprValuC+182], s[54:55]   // 
v_cmp_class_f32 s[54:55], v[vgprValuC+183], v10    // check NaN and +/-INF
v_med3_f32 v7, v[vgprValuC+183], v8, v9            // Clipping f32 value if exceeds the limit
v_cndmask_b32 v7, v7, v[vgprValuC+183], s[54:55]   // 
v_cvt_pk_bf8_f32  v180, v6, v7 op_sel:[0,0,1]      // convert two f32 accumulated values to fp8 and save it to hi_16[16:31]
s_mul_i32 s54, s[sgprStrideD1J], 13                // scale StrideD *= numRows(13) * bpe
s_add_u32  s[sgprSrdD+0], s[sgprSrdD+0], s54       // incToNextRow: gra SRD += inc(lower)
s_addc_u32  s[sgprSrdD+1], s[sgprSrdD+1], 0        // incToNextRow: gra SRD += inc(upper)
_buffer_store_b32 v180, v11, s[sgprSrdD:sgprSrdD+3], 0, offen, offset:0,  sc0 sc1 // store D
v_cmp_class_f32 s[54:55], v[vgprValuC+184], v10    // check NaN and +/-INF
v_med3_f32 v6, v[vgprValuC+184], v8, v9            // Clipping f32 value if exceeds the limit
v_cndmask_b32 v6, v6, v[vgprValuC+184], s[54:55]   // 
v_cmp_class_f32 s[54:55], v[vgprValuC+185], v10    // check NaN and +/-INF
v_med3_f32 v7, v[vgprValuC+185], v8, v9            // Clipping f32 value if exceeds the limit
v_cndmask_b32 v7, v7, v[vgprValuC+185], s[54:55]   // 
v_cvt_pk_bf8_f32  v184, v6, v7 op_sel:[0,0,0]      // convert two f32 accumulated values to fp8 and save it to lo_16[0:15]
v_cmp_class_f32 s[54:55], v[vgprValuC+186], v10    // check NaN and +/-INF
v_med3_f32 v6, v[vgprValuC+186], v8, v9            // Clipping f32 value if exceeds the limit
v_cndmask_b32 v6, v6, v[vgprValuC+186], s[54:55]   // 
v_cmp_class_f32 s[54:55], v[vgprValuC+187], v10    // check NaN and +/-INF
v_med3_f32 v7, v[vgprValuC+187], v8, v9            // Clipping f32 value if exceeds the limit
v_cndmask_b32 v7, v7, v[vgprValuC+187], s[54:55]   // 
v_cvt_pk_bf8_f32  v184, v6, v7 op_sel:[0,0,1]      // convert two f32 accumulated values to fp8 and save it to hi_16[16:31]
s_lshl_b32  s54, s[sgprStrideD1J], 0               // incToNextRow: Scale by BPE
s_add_u32  s[sgprSrdD+0], s[sgprSrdD+0], s54       // incToNextRow: gra SRD += inc(lower)
s_addc_u32  s[sgprSrdD+1], s[sgprSrdD+1], 0        // incToNextRow: gra SRD += inc(upper)
_buffer_store_b32 v184, v11, s[sgprSrdD:sgprSrdD+3], 0, offen, offset:0,  sc0 sc1 // store D
v_cmp_class_f32 s[54:55], v[vgprValuC+188], v10    // check NaN and +/-INF
v_med3_f32 v6, v[vgprValuC+188], v8, v9            // Clipping f32 value if exceeds the limit
v_cndmask_b32 v6, v6, v[vgprValuC+188], s[54:55]   // 
v_cmp_class_f32 s[54:55], v[vgprValuC+189], v10    // check NaN and +/-INF
v_med3_f32 v7, v[vgprValuC+189], v8, v9            // Clipping f32 value if exceeds the limit
v_cndmask_b32 v7, v7, v[vgprValuC+189], s[54:55]   // 
v_cvt_pk_bf8_f32  v188, v6, v7 op_sel:[0,0,0]      // convert two f32 accumulated values to fp8 and save it to lo_16[0:15]
v_cmp_class_f32 s[54:55], v[vgprValuC+190], v10    // check NaN and +/-INF
v_med3_f32 v6, v[vgprValuC+190], v8, v9            // Clipping f32 value if exceeds the limit
v_cndmask_b32 v6, v6, v[vgprValuC+190], s[54:55]   // 
v_cmp_class_f32 s[54:55], v[vgprValuC+191], v10    // check NaN and +/-INF
v_med3_f32 v7, v[vgprValuC+191], v8, v9            // Clipping f32 value if exceeds the limit
v_cndmask_b32 v7, v7, v[vgprValuC+191], s[54:55]   // 
v_cvt_pk_bf8_f32  v188, v6, v7 op_sel:[0,0,1]      // convert two f32 accumulated values to fp8 and save it to hi_16[16:31]
s_lshl_b32  s54, s[sgprStrideD1J], 0               // incToNextRow: Scale by BPE
	;; [unrolled: 18-line block ×3, first 2 shown]
s_add_u32  s[sgprSrdD+0], s[sgprSrdD+0], s54       // incToNextRow: gra SRD += inc(lower)
s_addc_u32  s[sgprSrdD+1], s[sgprSrdD+1], 0        // incToNextRow: gra SRD += inc(upper)
_buffer_store_b32 v192, v11, s[sgprSrdD:sgprSrdD+3], 0, offen, offset:0,  sc0 sc1 // store D
v_cmp_class_f32 s[54:55], v[vgprValuC+196], v10    // check NaN and +/-INF
v_med3_f32 v6, v[vgprValuC+196], v8, v9            // Clipping f32 value if exceeds the limit
v_cndmask_b32 v6, v6, v[vgprValuC+196], s[54:55]   // 
v_cmp_class_f32 s[54:55], v[vgprValuC+197], v10    // check NaN and +/-INF
v_med3_f32 v7, v[vgprValuC+197], v8, v9            // Clipping f32 value if exceeds the limit
v_cndmask_b32 v7, v7, v[vgprValuC+197], s[54:55]   // 
v_cvt_pk_bf8_f32  v196, v6, v7 op_sel:[0,0,0]      // convert two f32 accumulated values to fp8 and save it to lo_16[0:15]
v_cmp_class_f32 s[54:55], v[vgprValuC+198], v10    // check NaN and +/-INF
v_med3_f32 v6, v[vgprValuC+198], v8, v9            // Clipping f32 value if exceeds the limit
v_cndmask_b32 v6, v6, v[vgprValuC+198], s[54:55]   // 
v_cmp_class_f32 s[54:55], v[vgprValuC+199], v10    // check NaN and +/-INF
v_med3_f32 v7, v[vgprValuC+199], v8, v9            // Clipping f32 value if exceeds the limit
v_cndmask_b32 v7, v7, v[vgprValuC+199], s[54:55]   // 
v_cvt_pk_bf8_f32  v196, v6, v7 op_sel:[0,0,1]      // convert two f32 accumulated values to fp8 and save it to hi_16[16:31]
s_mul_i32 s54, s[sgprStrideD1J], 13                // scale StrideD *= numRows(13) * bpe
s_add_u32  s[sgprSrdD+0], s[sgprSrdD+0], s54       // incToNextRow: gra SRD += inc(lower)
s_addc_u32  s[sgprSrdD+1], s[sgprSrdD+1], 0        // incToNextRow: gra SRD += inc(upper)
_buffer_store_b32 v196, v11, s[sgprSrdD:sgprSrdD+3], 0, offen, offset:0,  sc0 sc1 // store D
v_cmp_class_f32 s[54:55], v[vgprValuC+200], v10    // check NaN and +/-INF
v_med3_f32 v6, v[vgprValuC+200], v8, v9            // Clipping f32 value if exceeds the limit
v_cndmask_b32 v6, v6, v[vgprValuC+200], s[54:55]   // 
v_cmp_class_f32 s[54:55], v[vgprValuC+201], v10    // check NaN and +/-INF
v_med3_f32 v7, v[vgprValuC+201], v8, v9            // Clipping f32 value if exceeds the limit
v_cndmask_b32 v7, v7, v[vgprValuC+201], s[54:55]   // 
v_cvt_pk_bf8_f32  v200, v6, v7 op_sel:[0,0,0]      // convert two f32 accumulated values to fp8 and save it to lo_16[0:15]
v_cmp_class_f32 s[54:55], v[vgprValuC+202], v10    // check NaN and +/-INF
v_med3_f32 v6, v[vgprValuC+202], v8, v9            // Clipping f32 value if exceeds the limit
v_cndmask_b32 v6, v6, v[vgprValuC+202], s[54:55]   // 
v_cmp_class_f32 s[54:55], v[vgprValuC+203], v10    // check NaN and +/-INF
v_med3_f32 v7, v[vgprValuC+203], v8, v9            // Clipping f32 value if exceeds the limit
v_cndmask_b32 v7, v7, v[vgprValuC+203], s[54:55]   // 
v_cvt_pk_bf8_f32  v200, v6, v7 op_sel:[0,0,1]      // convert two f32 accumulated values to fp8 and save it to hi_16[16:31]
s_lshl_b32  s54, s[sgprStrideD1J], 0               // incToNextRow: Scale by BPE
s_add_u32  s[sgprSrdD+0], s[sgprSrdD+0], s54       // incToNextRow: gra SRD += inc(lower)
s_addc_u32  s[sgprSrdD+1], s[sgprSrdD+1], 0        // incToNextRow: gra SRD += inc(upper)
_buffer_store_b32 v200, v11, s[sgprSrdD:sgprSrdD+3], 0, offen, offset:0,  sc0 sc1 // store D
v_cmp_class_f32 s[54:55], v[vgprValuC+204], v10    // check NaN and +/-INF
v_med3_f32 v6, v[vgprValuC+204], v8, v9            // Clipping f32 value if exceeds the limit
v_cndmask_b32 v6, v6, v[vgprValuC+204], s[54:55]   // 
v_cmp_class_f32 s[54:55], v[vgprValuC+205], v10    // check NaN and +/-INF
v_med3_f32 v7, v[vgprValuC+205], v8, v9            // Clipping f32 value if exceeds the limit
v_cndmask_b32 v7, v7, v[vgprValuC+205], s[54:55]   // 
v_cvt_pk_bf8_f32  v204, v6, v7 op_sel:[0,0,0]      // convert two f32 accumulated values to fp8 and save it to lo_16[0:15]
v_cmp_class_f32 s[54:55], v[vgprValuC+206], v10    // check NaN and +/-INF
v_med3_f32 v6, v[vgprValuC+206], v8, v9            // Clipping f32 value if exceeds the limit
v_cndmask_b32 v6, v6, v[vgprValuC+206], s[54:55]   // 
v_cmp_class_f32 s[54:55], v[vgprValuC+207], v10    // check NaN and +/-INF
v_med3_f32 v7, v[vgprValuC+207], v8, v9            // Clipping f32 value if exceeds the limit
v_cndmask_b32 v7, v7, v[vgprValuC+207], s[54:55]   // 
v_cvt_pk_bf8_f32  v204, v6, v7 op_sel:[0,0,1]      // convert two f32 accumulated values to fp8 and save it to hi_16[16:31]
s_lshl_b32  s54, s[sgprStrideD1J], 0               // incToNextRow: Scale by BPE
	;; [unrolled: 18-line block ×3, first 2 shown]
s_add_u32  s[sgprSrdD+0], s[sgprSrdD+0], s54       // incToNextRow: gra SRD += inc(lower)
s_addc_u32  s[sgprSrdD+1], s[sgprSrdD+1], 0        // incToNextRow: gra SRD += inc(upper)
_buffer_store_b32 v208, v11, s[sgprSrdD:sgprSrdD+3], 0, offen, offset:0,  sc0 sc1 // store D
v_cmp_class_f32 s[54:55], v[vgprValuC+212], v10    // check NaN and +/-INF
v_med3_f32 v6, v[vgprValuC+212], v8, v9            // Clipping f32 value if exceeds the limit
v_cndmask_b32 v6, v6, v[vgprValuC+212], s[54:55]   // 
v_cmp_class_f32 s[54:55], v[vgprValuC+213], v10    // check NaN and +/-INF
v_med3_f32 v7, v[vgprValuC+213], v8, v9            // Clipping f32 value if exceeds the limit
v_cndmask_b32 v7, v7, v[vgprValuC+213], s[54:55]   // 
v_cvt_pk_bf8_f32  v212, v6, v7 op_sel:[0,0,0]      // convert two f32 accumulated values to fp8 and save it to lo_16[0:15]
v_cmp_class_f32 s[54:55], v[vgprValuC+214], v10    // check NaN and +/-INF
v_med3_f32 v6, v[vgprValuC+214], v8, v9            // Clipping f32 value if exceeds the limit
v_cndmask_b32 v6, v6, v[vgprValuC+214], s[54:55]   // 
v_cmp_class_f32 s[54:55], v[vgprValuC+215], v10    // check NaN and +/-INF
v_med3_f32 v7, v[vgprValuC+215], v8, v9            // Clipping f32 value if exceeds the limit
v_cndmask_b32 v7, v7, v[vgprValuC+215], s[54:55]   // 
v_cvt_pk_bf8_f32  v212, v6, v7 op_sel:[0,0,1]      // convert two f32 accumulated values to fp8 and save it to hi_16[16:31]
s_mul_i32 s54, s[sgprStrideD1J], 13                // scale StrideD *= numRows(13) * bpe
s_add_u32  s[sgprSrdD+0], s[sgprSrdD+0], s54       // incToNextRow: gra SRD += inc(lower)
s_addc_u32  s[sgprSrdD+1], s[sgprSrdD+1], 0        // incToNextRow: gra SRD += inc(upper)
_buffer_store_b32 v212, v11, s[sgprSrdD:sgprSrdD+3], 0, offen, offset:0,  sc0 sc1 // store D
v_cmp_class_f32 s[54:55], v[vgprValuC+216], v10    // check NaN and +/-INF
v_med3_f32 v6, v[vgprValuC+216], v8, v9            // Clipping f32 value if exceeds the limit
v_cndmask_b32 v6, v6, v[vgprValuC+216], s[54:55]   // 
v_cmp_class_f32 s[54:55], v[vgprValuC+217], v10    // check NaN and +/-INF
v_med3_f32 v7, v[vgprValuC+217], v8, v9            // Clipping f32 value if exceeds the limit
v_cndmask_b32 v7, v7, v[vgprValuC+217], s[54:55]   // 
v_cvt_pk_bf8_f32  v216, v6, v7 op_sel:[0,0,0]      // convert two f32 accumulated values to fp8 and save it to lo_16[0:15]
v_cmp_class_f32 s[54:55], v[vgprValuC+218], v10    // check NaN and +/-INF
v_med3_f32 v6, v[vgprValuC+218], v8, v9            // Clipping f32 value if exceeds the limit
v_cndmask_b32 v6, v6, v[vgprValuC+218], s[54:55]   // 
v_cmp_class_f32 s[54:55], v[vgprValuC+219], v10    // check NaN and +/-INF
v_med3_f32 v7, v[vgprValuC+219], v8, v9            // Clipping f32 value if exceeds the limit
v_cndmask_b32 v7, v7, v[vgprValuC+219], s[54:55]   // 
v_cvt_pk_bf8_f32  v216, v6, v7 op_sel:[0,0,1]      // convert two f32 accumulated values to fp8 and save it to hi_16[16:31]
s_lshl_b32  s54, s[sgprStrideD1J], 0               // incToNextRow: Scale by BPE
s_add_u32  s[sgprSrdD+0], s[sgprSrdD+0], s54       // incToNextRow: gra SRD += inc(lower)
s_addc_u32  s[sgprSrdD+1], s[sgprSrdD+1], 0        // incToNextRow: gra SRD += inc(upper)
_buffer_store_b32 v216, v11, s[sgprSrdD:sgprSrdD+3], 0, offen, offset:0,  sc0 sc1 // store D
v_cmp_class_f32 s[54:55], v[vgprValuC+220], v10    // check NaN and +/-INF
v_med3_f32 v6, v[vgprValuC+220], v8, v9            // Clipping f32 value if exceeds the limit
v_cndmask_b32 v6, v6, v[vgprValuC+220], s[54:55]   // 
v_cmp_class_f32 s[54:55], v[vgprValuC+221], v10    // check NaN and +/-INF
v_med3_f32 v7, v[vgprValuC+221], v8, v9            // Clipping f32 value if exceeds the limit
v_cndmask_b32 v7, v7, v[vgprValuC+221], s[54:55]   // 
v_cvt_pk_bf8_f32  v220, v6, v7 op_sel:[0,0,0]      // convert two f32 accumulated values to fp8 and save it to lo_16[0:15]
v_cmp_class_f32 s[54:55], v[vgprValuC+222], v10    // check NaN and +/-INF
v_med3_f32 v6, v[vgprValuC+222], v8, v9            // Clipping f32 value if exceeds the limit
v_cndmask_b32 v6, v6, v[vgprValuC+222], s[54:55]   // 
v_cmp_class_f32 s[54:55], v[vgprValuC+223], v10    // check NaN and +/-INF
v_med3_f32 v7, v[vgprValuC+223], v8, v9            // Clipping f32 value if exceeds the limit
v_cndmask_b32 v7, v7, v[vgprValuC+223], s[54:55]   // 
v_cvt_pk_bf8_f32  v220, v6, v7 op_sel:[0,0,1]      // convert two f32 accumulated values to fp8 and save it to hi_16[16:31]
s_lshl_b32  s54, s[sgprStrideD1J], 0               // incToNextRow: Scale by BPE
	;; [unrolled: 18-line block ×3, first 2 shown]
s_add_u32  s[sgprSrdD+0], s[sgprSrdD+0], s54       // incToNextRow: gra SRD += inc(lower)
s_addc_u32  s[sgprSrdD+1], s[sgprSrdD+1], 0        // incToNextRow: gra SRD += inc(upper)
_buffer_store_b32 v224, v11, s[sgprSrdD:sgprSrdD+3], 0, offen, offset:0,  sc0 sc1 // store D
v_cmp_class_f32 s[54:55], v[vgprValuC+228], v10    // check NaN and +/-INF
v_med3_f32 v6, v[vgprValuC+228], v8, v9            // Clipping f32 value if exceeds the limit
v_cndmask_b32 v6, v6, v[vgprValuC+228], s[54:55]   // 
v_cmp_class_f32 s[54:55], v[vgprValuC+229], v10    // check NaN and +/-INF
v_med3_f32 v7, v[vgprValuC+229], v8, v9            // Clipping f32 value if exceeds the limit
v_cndmask_b32 v7, v7, v[vgprValuC+229], s[54:55]   // 
v_cvt_pk_bf8_f32  v228, v6, v7 op_sel:[0,0,0]      // convert two f32 accumulated values to fp8 and save it to lo_16[0:15]
v_cmp_class_f32 s[54:55], v[vgprValuC+230], v10    // check NaN and +/-INF
v_med3_f32 v6, v[vgprValuC+230], v8, v9            // Clipping f32 value if exceeds the limit
v_cndmask_b32 v6, v6, v[vgprValuC+230], s[54:55]   // 
v_cmp_class_f32 s[54:55], v[vgprValuC+231], v10    // check NaN and +/-INF
v_med3_f32 v7, v[vgprValuC+231], v8, v9            // Clipping f32 value if exceeds the limit
v_cndmask_b32 v7, v7, v[vgprValuC+231], s[54:55]   // 
v_cvt_pk_bf8_f32  v228, v6, v7 op_sel:[0,0,1]      // convert two f32 accumulated values to fp8 and save it to hi_16[16:31]
s_mul_i32 s54, s[sgprStrideD1J], 13                // scale StrideD *= numRows(13) * bpe
s_add_u32  s[sgprSrdD+0], s[sgprSrdD+0], s54       // incToNextRow: gra SRD += inc(lower)
s_addc_u32  s[sgprSrdD+1], s[sgprSrdD+1], 0        // incToNextRow: gra SRD += inc(upper)
_buffer_store_b32 v228, v11, s[sgprSrdD:sgprSrdD+3], 0, offen, offset:0,  sc0 sc1 // store D
v_cmp_class_f32 s[54:55], v[vgprValuC+232], v10    // check NaN and +/-INF
v_med3_f32 v6, v[vgprValuC+232], v8, v9            // Clipping f32 value if exceeds the limit
v_cndmask_b32 v6, v6, v[vgprValuC+232], s[54:55]   // 
v_cmp_class_f32 s[54:55], v[vgprValuC+233], v10    // check NaN and +/-INF
v_med3_f32 v7, v[vgprValuC+233], v8, v9            // Clipping f32 value if exceeds the limit
v_cndmask_b32 v7, v7, v[vgprValuC+233], s[54:55]   // 
v_cvt_pk_bf8_f32  v232, v6, v7 op_sel:[0,0,0]      // convert two f32 accumulated values to fp8 and save it to lo_16[0:15]
v_cmp_class_f32 s[54:55], v[vgprValuC+234], v10    // check NaN and +/-INF
v_med3_f32 v6, v[vgprValuC+234], v8, v9            // Clipping f32 value if exceeds the limit
v_cndmask_b32 v6, v6, v[vgprValuC+234], s[54:55]   // 
v_cmp_class_f32 s[54:55], v[vgprValuC+235], v10    // check NaN and +/-INF
v_med3_f32 v7, v[vgprValuC+235], v8, v9            // Clipping f32 value if exceeds the limit
v_cndmask_b32 v7, v7, v[vgprValuC+235], s[54:55]   // 
v_cvt_pk_bf8_f32  v232, v6, v7 op_sel:[0,0,1]      // convert two f32 accumulated values to fp8 and save it to hi_16[16:31]
s_lshl_b32  s54, s[sgprStrideD1J], 0               // incToNextRow: Scale by BPE
s_add_u32  s[sgprSrdD+0], s[sgprSrdD+0], s54       // incToNextRow: gra SRD += inc(lower)
s_addc_u32  s[sgprSrdD+1], s[sgprSrdD+1], 0        // incToNextRow: gra SRD += inc(upper)
_buffer_store_b32 v232, v11, s[sgprSrdD:sgprSrdD+3], 0, offen, offset:0,  sc0 sc1 // store D
v_cmp_class_f32 s[54:55], v[vgprValuC+236], v10    // check NaN and +/-INF
v_med3_f32 v6, v[vgprValuC+236], v8, v9            // Clipping f32 value if exceeds the limit
v_cndmask_b32 v6, v6, v[vgprValuC+236], s[54:55]   // 
v_cmp_class_f32 s[54:55], v[vgprValuC+237], v10    // check NaN and +/-INF
v_med3_f32 v7, v[vgprValuC+237], v8, v9            // Clipping f32 value if exceeds the limit
v_cndmask_b32 v7, v7, v[vgprValuC+237], s[54:55]   // 
v_cvt_pk_bf8_f32  v236, v6, v7 op_sel:[0,0,0]      // convert two f32 accumulated values to fp8 and save it to lo_16[0:15]
v_cmp_class_f32 s[54:55], v[vgprValuC+238], v10    // check NaN and +/-INF
v_med3_f32 v6, v[vgprValuC+238], v8, v9            // Clipping f32 value if exceeds the limit
v_cndmask_b32 v6, v6, v[vgprValuC+238], s[54:55]   // 
v_cmp_class_f32 s[54:55], v[vgprValuC+239], v10    // check NaN and +/-INF
v_med3_f32 v7, v[vgprValuC+239], v8, v9            // Clipping f32 value if exceeds the limit
v_cndmask_b32 v7, v7, v[vgprValuC+239], s[54:55]   // 
v_cvt_pk_bf8_f32  v236, v6, v7 op_sel:[0,0,1]      // convert two f32 accumulated values to fp8 and save it to hi_16[16:31]
s_lshl_b32  s54, s[sgprStrideD1J], 0               // incToNextRow: Scale by BPE
	;; [unrolled: 18-line block ×3, first 2 shown]
s_add_u32  s[sgprSrdD+0], s[sgprSrdD+0], s54       // incToNextRow: gra SRD += inc(lower)
s_addc_u32  s[sgprSrdD+1], s[sgprSrdD+1], 0        // incToNextRow: gra SRD += inc(upper)
_buffer_store_b32 v240, v11, s[sgprSrdD:sgprSrdD+3], 0, offen, offset:0,  sc0 sc1 // store D
v_cmp_class_f32 s[54:55], v[vgprValuC+244], v10    // check NaN and +/-INF
v_med3_f32 v6, v[vgprValuC+244], v8, v9            // Clipping f32 value if exceeds the limit
v_cndmask_b32 v6, v6, v[vgprValuC+244], s[54:55]   // 
v_cmp_class_f32 s[54:55], v[vgprValuC+245], v10    // check NaN and +/-INF
v_med3_f32 v7, v[vgprValuC+245], v8, v9            // Clipping f32 value if exceeds the limit
v_cndmask_b32 v7, v7, v[vgprValuC+245], s[54:55]   // 
v_cvt_pk_bf8_f32  v244, v6, v7 op_sel:[0,0,0]      // convert two f32 accumulated values to fp8 and save it to lo_16[0:15]
v_cmp_class_f32 s[54:55], v[vgprValuC+246], v10    // check NaN and +/-INF
v_med3_f32 v6, v[vgprValuC+246], v8, v9            // Clipping f32 value if exceeds the limit
v_cndmask_b32 v6, v6, v[vgprValuC+246], s[54:55]   // 
v_cmp_class_f32 s[54:55], v[vgprValuC+247], v10    // check NaN and +/-INF
v_med3_f32 v7, v[vgprValuC+247], v8, v9            // Clipping f32 value if exceeds the limit
v_cndmask_b32 v7, v7, v[vgprValuC+247], s[54:55]   // 
v_cvt_pk_bf8_f32  v244, v6, v7 op_sel:[0,0,1]      // convert two f32 accumulated values to fp8 and save it to hi_16[16:31]
s_mul_i32 s54, s[sgprStrideD1J], 13                // scale StrideD *= numRows(13) * bpe
s_add_u32  s[sgprSrdD+0], s[sgprSrdD+0], s54       // incToNextRow: gra SRD += inc(lower)
s_addc_u32  s[sgprSrdD+1], s[sgprSrdD+1], 0        // incToNextRow: gra SRD += inc(upper)
_buffer_store_b32 v244, v11, s[sgprSrdD:sgprSrdD+3], 0, offen, offset:0,  sc0 sc1 // store D
v_cmp_class_f32 s[54:55], v[vgprValuC+248], v10    // check NaN and +/-INF
v_med3_f32 v6, v[vgprValuC+248], v8, v9            // Clipping f32 value if exceeds the limit
v_cndmask_b32 v6, v6, v[vgprValuC+248], s[54:55]   // 
v_cmp_class_f32 s[54:55], v[vgprValuC+249], v10    // check NaN and +/-INF
v_med3_f32 v7, v[vgprValuC+249], v8, v9            // Clipping f32 value if exceeds the limit
v_cndmask_b32 v7, v7, v[vgprValuC+249], s[54:55]   // 
v_cvt_pk_bf8_f32  v248, v6, v7 op_sel:[0,0,0]      // convert two f32 accumulated values to fp8 and save it to lo_16[0:15]
v_cmp_class_f32 s[54:55], v[vgprValuC+250], v10    // check NaN and +/-INF
v_med3_f32 v6, v[vgprValuC+250], v8, v9            // Clipping f32 value if exceeds the limit
v_cndmask_b32 v6, v6, v[vgprValuC+250], s[54:55]   // 
v_cmp_class_f32 s[54:55], v[vgprValuC+251], v10    // check NaN and +/-INF
v_med3_f32 v7, v[vgprValuC+251], v8, v9            // Clipping f32 value if exceeds the limit
v_cndmask_b32 v7, v7, v[vgprValuC+251], s[54:55]   // 
v_cvt_pk_bf8_f32  v248, v6, v7 op_sel:[0,0,1]      // convert two f32 accumulated values to fp8 and save it to hi_16[16:31]
s_lshl_b32  s54, s[sgprStrideD1J], 0               // incToNextRow: Scale by BPE
s_add_u32  s[sgprSrdD+0], s[sgprSrdD+0], s54       // incToNextRow: gra SRD += inc(lower)
s_addc_u32  s[sgprSrdD+1], s[sgprSrdD+1], 0        // incToNextRow: gra SRD += inc(upper)
_buffer_store_b32 v248, v11, s[sgprSrdD:sgprSrdD+3], 0, offen, offset:0,  sc0 sc1 // store D
v_cmp_class_f32 s[54:55], v[vgprValuC+252], v10    // check NaN and +/-INF
v_med3_f32 v6, v[vgprValuC+252], v8, v9            // Clipping f32 value if exceeds the limit
v_cndmask_b32 v6, v6, v[vgprValuC+252], s[54:55]   // 
v_cmp_class_f32 s[54:55], v[vgprValuC+253], v10    // check NaN and +/-INF
v_med3_f32 v7, v[vgprValuC+253], v8, v9            // Clipping f32 value if exceeds the limit
v_cndmask_b32 v7, v7, v[vgprValuC+253], s[54:55]   // 
v_cvt_pk_bf8_f32  v252, v6, v7 op_sel:[0,0,0]      // convert two f32 accumulated values to fp8 and save it to lo_16[0:15]
v_cmp_class_f32 s[54:55], v[vgprValuC+254], v10    // check NaN and +/-INF
v_med3_f32 v6, v[vgprValuC+254], v8, v9            // Clipping f32 value if exceeds the limit
v_cndmask_b32 v6, v6, v[vgprValuC+254], s[54:55]   // 
v_cmp_class_f32 s[54:55], v[vgprValuC+255], v10    // check NaN and +/-INF
v_med3_f32 v7, v[vgprValuC+255], v8, v9            // Clipping f32 value if exceeds the limit
v_cndmask_b32 v7, v7, v[vgprValuC+255], s[54:55]   // 
v_cvt_pk_bf8_f32  v252, v6, v7 op_sel:[0,0,1]      // convert two f32 accumulated values to fp8 and save it to hi_16[16:31]
s_lshl_b32  s54, s[sgprStrideD1J], 0               // incToNextRow: Scale by BPE
s_add_u32  s[sgprSrdD+0], s[sgprSrdD+0], s54       // incToNextRow: gra SRD += inc(lower)
s_addc_u32  s[sgprSrdD+1], s[sgprSrdD+1], 0        // incToNextRow: gra SRD += inc(upper)
_buffer_store_b32 v252, v11, s[sgprSrdD:sgprSrdD+3], 0, offen, offset:0,  sc0 sc1 // store D
s_nop 0                                            // 1 wait state required when next inst writes vgprs held by previous dwordx4 store inst
/* optSingleColVgpr=1 optSharedColVgpr=0 optSGPRUsage=BufferLoad_Mask optSrdIncForRow=1 */
s_sleep 3 // optimization: sync and wait
s_barrier

/******************************************/
/* Global Write Alpha Batch #1 (d1,d0,vc1,vc0) = */
/*    (14,0,3,0:vw4); (15,0,0,0:vw4); (15,0,1,0:vw4); (15,0,2,0:vw4); (15,0,3,0:vw4) */
/******************************************/

/* calc coords, apply mask, and issue loads (if necessary) */
/* (d1,vc1,d0,vc0)=(14,3,0,0) */
/* (d1,vc1,d0,vc0)=(15,0,0,0) */
	;; [unrolled: 1-line block ×5, first 2 shown]
v_accvgpr_read_b32 v[vgprValuC+16], acc227 // copy acc to vreg[236]
v_accvgpr_read_b32 v[vgprValuC+17], acc231 // copy acc to vreg[237]
v_accvgpr_read_b32 v[vgprValuC+18], acc235 // copy acc to vreg[238]
v_accvgpr_read_b32 v[vgprValuC+19], acc239 // copy acc to vreg[239]
v_accvgpr_read_b32 v[vgprValuC+20], acc240 // copy acc to vreg[240]
v_accvgpr_read_b32 v[vgprValuC+21], acc244 // copy acc to vreg[241]
v_accvgpr_read_b32 v[vgprValuC+22], acc248 // copy acc to vreg[242]
v_accvgpr_read_b32 v[vgprValuC+23], acc252 // copy acc to vreg[243]
v_accvgpr_read_b32 v[vgprValuC+24], acc241 // copy acc to vreg[244]
v_accvgpr_read_b32 v[vgprValuC+25], acc245 // copy acc to vreg[245]
v_accvgpr_read_b32 v[vgprValuC+26], acc249 // copy acc to vreg[246]
v_accvgpr_read_b32 v[vgprValuC+27], acc253 // copy acc to vreg[247]
v_accvgpr_read_b32 v[vgprValuC+28], acc242 // copy acc to vreg[248]
v_accvgpr_read_b32 v[vgprValuC+29], acc246 // copy acc to vreg[249]
v_accvgpr_read_b32 v[vgprValuC+30], acc250 // copy acc to vreg[250]
v_accvgpr_read_b32 v[vgprValuC+31], acc254 // copy acc to vreg[251]
v_accvgpr_read_b32 v[vgprValuC+32], acc243 // copy acc to vreg[252]
v_accvgpr_read_b32 v[vgprValuC+33], acc247 // copy acc to vreg[253]
v_accvgpr_read_b32 v[vgprValuC+34], acc251 // copy acc to vreg[254]
v_accvgpr_read_b32 v[vgprValuC+35], acc255 // copy acc to vreg[255]
s_nop 1                                            // 2 wait states required before reading vgpr

/* rC *= alpha batchElements=[(14, 0, 3, 0), (15, 0, 0, 0), (15, 0, 1, 0), (15, 0, 2, 0), (15, 0, 3, 0)] */
v_mul_f32 v[vgprValuC+16], s[sgprAlpha], v[vgprValuC+16] // *= alpha
v_mul_f32 v[vgprValuC+17], s[sgprAlpha], v[vgprValuC+17] // *= alpha
	;; [unrolled: 1-line block ×20, first 2 shown]

/* apply mask, calc new C and issue writes */
v_mov_b32 v10, 0x207                               // flag for Nan and +/- inf
v_mov_b32 v8, 0x47600000                           // save 57344.0f as max for clipping
v_mov_b32 v9, 0xC7600000                           // save -57344`.0f as min for clipping
v_cmp_class_f32 s[54:55], v[vgprValuC+16], v10     // check NaN and +/-INF
v_med3_f32 v6, v[vgprValuC+16], v8, v9             // Clipping f32 value if exceeds the limit
v_cndmask_b32 v6, v6, v[vgprValuC+16], s[54:55]    // 
v_cmp_class_f32 s[54:55], v[vgprValuC+17], v10     // check NaN and +/-INF
v_med3_f32 v7, v[vgprValuC+17], v8, v9             // Clipping f32 value if exceeds the limit
v_cndmask_b32 v7, v7, v[vgprValuC+17], s[54:55]    // 
v_cvt_pk_bf8_f32  v16, v6, v7 op_sel:[0,0,0]       // convert two f32 accumulated values to fp8 and save it to lo_16[0:15]
v_cmp_class_f32 s[54:55], v[vgprValuC+18], v10     // check NaN and +/-INF
v_med3_f32 v6, v[vgprValuC+18], v8, v9             // Clipping f32 value if exceeds the limit
v_cndmask_b32 v6, v6, v[vgprValuC+18], s[54:55]    // 
v_cmp_class_f32 s[54:55], v[vgprValuC+19], v10     // check NaN and +/-INF
v_med3_f32 v7, v[vgprValuC+19], v8, v9             // Clipping f32 value if exceeds the limit
v_cndmask_b32 v7, v7, v[vgprValuC+19], s[54:55]    // 
v_cvt_pk_bf8_f32  v16, v6, v7 op_sel:[0,0,1]       // convert two f32 accumulated values to fp8 and save it to hi_16[16:31]
s_lshl_b32  s54, s[sgprStrideD1J], 0               // incToNextRow: Scale by BPE
s_add_u32  s[sgprSrdD+0], s[sgprSrdD+0], s54       // incToNextRow: gra SRD += inc(lower)
s_addc_u32  s[sgprSrdD+1], s[sgprSrdD+1], 0        // incToNextRow: gra SRD += inc(upper)
_buffer_store_b32 v16, v11, s[sgprSrdD:sgprSrdD+3], 0, offen, offset:0,  sc0 sc1 // store D
v_cmp_class_f32 s[54:55], v[vgprValuC+20], v10     // check NaN and +/-INF
v_med3_f32 v6, v[vgprValuC+20], v8, v9             // Clipping f32 value if exceeds the limit
v_cndmask_b32 v6, v6, v[vgprValuC+20], s[54:55]    // 
v_cmp_class_f32 s[54:55], v[vgprValuC+21], v10     // check NaN and +/-INF
v_med3_f32 v7, v[vgprValuC+21], v8, v9             // Clipping f32 value if exceeds the limit
v_cndmask_b32 v7, v7, v[vgprValuC+21], s[54:55]    // 
v_cvt_pk_bf8_f32  v20, v6, v7 op_sel:[0,0,0]       // convert two f32 accumulated values to fp8 and save it to lo_16[0:15]
v_cmp_class_f32 s[54:55], v[vgprValuC+22], v10     // check NaN and +/-INF
v_med3_f32 v6, v[vgprValuC+22], v8, v9             // Clipping f32 value if exceeds the limit
v_cndmask_b32 v6, v6, v[vgprValuC+22], s[54:55]    // 
v_cmp_class_f32 s[54:55], v[vgprValuC+23], v10     // check NaN and +/-INF
v_med3_f32 v7, v[vgprValuC+23], v8, v9             // Clipping f32 value if exceeds the limit
v_cndmask_b32 v7, v7, v[vgprValuC+23], s[54:55]    // 
v_cvt_pk_bf8_f32  v20, v6, v7 op_sel:[0,0,1]       // convert two f32 accumulated values to fp8 and save it to hi_16[16:31]
s_mul_i32 s54, s[sgprStrideD1J], 13                // scale StrideD *= numRows(13) * bpe
s_add_u32  s[sgprSrdD+0], s[sgprSrdD+0], s54       // incToNextRow: gra SRD += inc(lower)
s_addc_u32  s[sgprSrdD+1], s[sgprSrdD+1], 0        // incToNextRow: gra SRD += inc(upper)
_buffer_store_b32 v20, v11, s[sgprSrdD:sgprSrdD+3], 0, offen, offset:0,  sc0 sc1 // store D
v_cmp_class_f32 s[54:55], v[vgprValuC+24], v10     // check NaN and +/-INF
v_med3_f32 v6, v[vgprValuC+24], v8, v9             // Clipping f32 value if exceeds the limit
v_cndmask_b32 v6, v6, v[vgprValuC+24], s[54:55]    // 
v_cmp_class_f32 s[54:55], v[vgprValuC+25], v10     // check NaN and +/-INF
v_med3_f32 v7, v[vgprValuC+25], v8, v9             // Clipping f32 value if exceeds the limit
v_cndmask_b32 v7, v7, v[vgprValuC+25], s[54:55]    // 
v_cvt_pk_bf8_f32  v24, v6, v7 op_sel:[0,0,0]       // convert two f32 accumulated values to fp8 and save it to lo_16[0:15]
v_cmp_class_f32 s[54:55], v[vgprValuC+26], v10     // check NaN and +/-INF
v_med3_f32 v6, v[vgprValuC+26], v8, v9             // Clipping f32 value if exceeds the limit
v_cndmask_b32 v6, v6, v[vgprValuC+26], s[54:55]    // 
v_cmp_class_f32 s[54:55], v[vgprValuC+27], v10     // check NaN and +/-INF
v_med3_f32 v7, v[vgprValuC+27], v8, v9             // Clipping f32 value if exceeds the limit
v_cndmask_b32 v7, v7, v[vgprValuC+27], s[54:55]    // 
v_cvt_pk_bf8_f32  v24, v6, v7 op_sel:[0,0,1]       // convert two f32 accumulated values to fp8 and save it to hi_16[16:31]
s_lshl_b32  s54, s[sgprStrideD1J], 0               // incToNextRow: Scale by BPE
s_add_u32  s[sgprSrdD+0], s[sgprSrdD+0], s54       // incToNextRow: gra SRD += inc(lower)
s_addc_u32  s[sgprSrdD+1], s[sgprSrdD+1], 0        // incToNextRow: gra SRD += inc(upper)
_buffer_store_b32 v24, v11, s[sgprSrdD:sgprSrdD+3], 0, offen, offset:0,  sc0 sc1 // store D
v_cmp_class_f32 s[54:55], v[vgprValuC+28], v10     // check NaN and +/-INF
v_med3_f32 v6, v[vgprValuC+28], v8, v9             // Clipping f32 value if exceeds the limit
v_cndmask_b32 v6, v6, v[vgprValuC+28], s[54:55]    // 
v_cmp_class_f32 s[54:55], v[vgprValuC+29], v10     // check NaN and +/-INF
v_med3_f32 v7, v[vgprValuC+29], v8, v9             // Clipping f32 value if exceeds the limit
v_cndmask_b32 v7, v7, v[vgprValuC+29], s[54:55]    // 
v_cvt_pk_bf8_f32  v28, v6, v7 op_sel:[0,0,0]       // convert two f32 accumulated values to fp8 and save it to lo_16[0:15]
v_cmp_class_f32 s[54:55], v[vgprValuC+30], v10     // check NaN and +/-INF
v_med3_f32 v6, v[vgprValuC+30], v8, v9             // Clipping f32 value if exceeds the limit
v_cndmask_b32 v6, v6, v[vgprValuC+30], s[54:55]    // 
v_cmp_class_f32 s[54:55], v[vgprValuC+31], v10     // check NaN and +/-INF
v_med3_f32 v7, v[vgprValuC+31], v8, v9             // Clipping f32 value if exceeds the limit
v_cndmask_b32 v7, v7, v[vgprValuC+31], s[54:55]    // 
v_cvt_pk_bf8_f32  v28, v6, v7 op_sel:[0,0,1]       // convert two f32 accumulated values to fp8 and save it to hi_16[16:31]
s_lshl_b32  s54, s[sgprStrideD1J], 0               // incToNextRow: Scale by BPE
	;; [unrolled: 18-line block ×3, first 2 shown]
s_add_u32  s[sgprSrdD+0], s[sgprSrdD+0], s54       // incToNextRow: gra SRD += inc(lower)
s_addc_u32  s[sgprSrdD+1], s[sgprSrdD+1], 0        // incToNextRow: gra SRD += inc(upper)
_buffer_store_b32 v32, v11, s[sgprSrdD:sgprSrdD+3], 0, offen, offset:0,  sc0 sc1 // store D
s_nop 0                                            // 1 wait state required when next inst writes vgprs held by previous dwordx4 store inst
s_branch label_GW_End_42                           // jump to end
GW_B0_E1_34:

/* edge=1, allocate 6 sgpr. perBatchTmpS=4 perBatchMaskS=2 perElementMaskS=0 elementsPerBatch=47 */
/* optSingleColVgpr=0 optSharedColVgpr=0 optSGPRUsage=BufferLoad_Edge_Mask optSrdIncForRow=0 */
s_sleep 3 // optimization: sync and wait
s_barrier

/******************************************/
/* Global Write Alpha Edge Batch #0 (d1,d0,vc1,vc0) = */
/*    (0,0,0,0:vw4); (0,0,1,0:vw4); (0,0,2,0:vw4); (0,0,3,0:vw4); (1,0,0,0:vw4); (1,0,1,0:vw4); (1,0,2,0:vw4); (1,0,3,0:vw4); (2,0,0,0:vw4); (2,0,1,0:vw4); (2,0,2,0:vw4); (2,0,3,0:vw4); (3,0,0,0:vw4); (3,0,1,0:vw4); (3,0,2,0:vw4); (3,0,3,0:vw4); (4,0,0,0:vw4); (4,0,1,0:vw4); (4,0,2,0:vw4); (4,0,3,0:vw4); (5,0,0,0:vw4); (5,0,1,0:vw4); (5,0,2,0:vw4); (5,0,3,0:vw4); (6,0,0,0:vw4); (6,0,1,0:vw4); (6,0,2,0:vw4); (6,0,3,0:vw4); (7,0,0,0:vw4); (7,0,1,0:vw4); (7,0,2,0:vw4); (7,0,3,0:vw4); (8,0,0,0:vw4); (8,0,1,0:vw4); (8,0,2,0:vw4); (8,0,3,0:vw4); (9,0,0,0:vw4); (9,0,1,0:vw4); (9,0,2,0:vw4); (9,0,3,0:vw4); (10,0,0,0:vw4); (10,0,1,0:vw4); (10,0,2,0:vw4); (10,0,3,0:vw4); (11,0,0,0:vw4); (11,0,1,0:vw4); (11,0,2,0:vw4) */
/******************************************/

/* calc coords, apply mask, and issue loads (if necessary) */
/* (d1,vc1,d0,vc0)=(0,0,0,0) */
v_cmp_lt_u32 s[54:55], v0, s[sgprSizeI]            // coord0 < size0
v_cmp_lt_u32 s[58:59], v1, s[sgprSizeJ]            // coord1 < size1
s_and_b64 s[58:59], s[54:55], s[58:59]             // in0 && in1
_v_add_lshl_u32 v11, v3, v0, 0x0                   // scaleToBpe: accumulate d0 lower and *= bpe into Cin addr
v_cndmask_b32 v11, -1, v11, s[58:59]               // LDD clip if OOB. offset
/* (d1,vc1,d0,vc0)=(0,1,0,0) */
_v_add_co_u32 v1, vcc, v1, 1                       // coord1.1: coord1Vgpr += d1*sg1*VW + vc1

/* Fix for UseInitialStridesCD, emitAddressSetupCode */
_v_add_u32 v2, v2, s[sgprStrideC1J]                // ROWINC- Move cinRowPtr to next row
_v_add_u32 v3, v3, s[sgprStrideD1J]                // Move coutRowPtr to next row
v_cmp_lt_u32 s[54:55], v0, s[sgprSizeI]            // coord0 < size0
v_cmp_lt_u32 s[58:59], v1, s[sgprSizeJ]            // coord1 < size1
s_and_b64 s[58:59], s[54:55], s[58:59]             // in0 && in1
_v_add_lshl_u32 v16, v3, v0, 0x0                   // scaleToBpe: accumulate d0 lower and *= bpe into Cin addr
v_cndmask_b32 v16, -1, v16, s[58:59]               // LDD clip if OOB. offset
/* (d1,vc1,d0,vc0)=(0,2,0,0) */
_v_add_co_u32 v1, vcc, v1, 1                       // coord1.1: coord1Vgpr += d1*sg1*VW + vc1

/* Fix for UseInitialStridesCD, emitAddressSetupCode */
_v_add_u32 v2, v2, s[sgprStrideC1J]                // ROWINC- Move cinRowPtr to next row
_v_add_u32 v3, v3, s[sgprStrideD1J]                // Move coutRowPtr to next row
v_cmp_lt_u32 s[54:55], v0, s[sgprSizeI]            // coord0 < size0
v_cmp_lt_u32 s[58:59], v1, s[sgprSizeJ]            // coord1 < size1
s_and_b64 s[58:59], s[54:55], s[58:59]             // in0 && in1
_v_add_lshl_u32 v17, v3, v0, 0x0                   // scaleToBpe: accumulate d0 lower and *= bpe into Cin addr
v_cndmask_b32 v17, -1, v17, s[58:59]               // LDD clip if OOB. offset
/* (d1,vc1,d0,vc0)=(0,3,0,0) */
_v_add_co_u32 v1, vcc, v1, 1                       // coord1.1: coord1Vgpr += d1*sg1*VW + vc1

/* Fix for UseInitialStridesCD, emitAddressSetupCode */
_v_add_u32 v2, v2, s[sgprStrideC1J]                // ROWINC- Move cinRowPtr to next row
_v_add_u32 v3, v3, s[sgprStrideD1J]                // Move coutRowPtr to next row
v_cmp_lt_u32 s[54:55], v0, s[sgprSizeI]            // coord0 < size0
v_cmp_lt_u32 s[58:59], v1, s[sgprSizeJ]            // coord1 < size1
s_and_b64 s[58:59], s[54:55], s[58:59]             // in0 && in1
_v_add_lshl_u32 v18, v3, v0, 0x0                   // scaleToBpe: accumulate d0 lower and *= bpe into Cin addr
v_cndmask_b32 v18, -1, v18, s[58:59]               // LDD clip if OOB. offset
/* (d1,vc1,d0,vc0)=(1,0,0,0) */
_v_add_co_u32 v1, vcc, v1, 13                      // coord1.1: coord1Vgpr += d1*sg1*VW + vc1

/* Fix for UseInitialStridesCD, emitAddressSetupCode */
s_mul_i32 s54, s[sgprStrideC1J], 13                // scale stride
_v_add_u32 v2, v2, s54                             // ROWINC- Move cinRowPtr to next row
s_mul_i32 s54, s[sgprStrideD1J], 13                // scale stride
_v_add_u32 v3, v3, s54                             // Move coutRowPtr to next row
v_cmp_lt_u32 s[54:55], v0, s[sgprSizeI]            // coord0 < size0
v_cmp_lt_u32 s[58:59], v1, s[sgprSizeJ]            // coord1 < size1
s_and_b64 s[58:59], s[54:55], s[58:59]             // in0 && in1
_v_add_lshl_u32 v19, v3, v0, 0x0                   // scaleToBpe: accumulate d0 lower and *= bpe into Cin addr
v_cndmask_b32 v19, -1, v19, s[58:59]               // LDD clip if OOB. offset
/* (d1,vc1,d0,vc0)=(1,1,0,0) */
_v_add_co_u32 v1, vcc, v1, 1                       // coord1.1: coord1Vgpr += d1*sg1*VW + vc1

/* Fix for UseInitialStridesCD, emitAddressSetupCode */
_v_add_u32 v2, v2, s[sgprStrideC1J]                // ROWINC- Move cinRowPtr to next row
_v_add_u32 v3, v3, s[sgprStrideD1J]                // Move coutRowPtr to next row
v_cmp_lt_u32 s[54:55], v0, s[sgprSizeI]            // coord0 < size0
v_cmp_lt_u32 s[58:59], v1, s[sgprSizeJ]            // coord1 < size1
s_and_b64 s[58:59], s[54:55], s[58:59]             // in0 && in1
_v_add_lshl_u32 v36, v3, v0, 0x0                   // scaleToBpe: accumulate d0 lower and *= bpe into Cin addr
v_cndmask_b32 v36, -1, v36, s[58:59]               // LDD clip if OOB. offset
/* (d1,vc1,d0,vc0)=(1,2,0,0) */
_v_add_co_u32 v1, vcc, v1, 1                       // coord1.1: coord1Vgpr += d1*sg1*VW + vc1

/* Fix for UseInitialStridesCD, emitAddressSetupCode */
_v_add_u32 v2, v2, s[sgprStrideC1J]                // ROWINC- Move cinRowPtr to next row
_v_add_u32 v3, v3, s[sgprStrideD1J]                // Move coutRowPtr to next row
v_cmp_lt_u32 s[54:55], v0, s[sgprSizeI]            // coord0 < size0
v_cmp_lt_u32 s[58:59], v1, s[sgprSizeJ]            // coord1 < size1
s_and_b64 s[58:59], s[54:55], s[58:59]             // in0 && in1
_v_add_lshl_u32 v37, v3, v0, 0x0                   // scaleToBpe: accumulate d0 lower and *= bpe into Cin addr
v_cndmask_b32 v37, -1, v37, s[58:59]               // LDD clip if OOB. offset
/* (d1,vc1,d0,vc0)=(1,3,0,0) */
_v_add_co_u32 v1, vcc, v1, 1                       // coord1.1: coord1Vgpr += d1*sg1*VW + vc1

/* Fix for UseInitialStridesCD, emitAddressSetupCode */
_v_add_u32 v2, v2, s[sgprStrideC1J]                // ROWINC- Move cinRowPtr to next row
_v_add_u32 v3, v3, s[sgprStrideD1J]                // Move coutRowPtr to next row
v_cmp_lt_u32 s[54:55], v0, s[sgprSizeI]            // coord0 < size0
v_cmp_lt_u32 s[58:59], v1, s[sgprSizeJ]            // coord1 < size1
s_and_b64 s[58:59], s[54:55], s[58:59]             // in0 && in1
_v_add_lshl_u32 v38, v3, v0, 0x0                   // scaleToBpe: accumulate d0 lower and *= bpe into Cin addr
v_cndmask_b32 v38, -1, v38, s[58:59]               // LDD clip if OOB. offset
/* (d1,vc1,d0,vc0)=(2,0,0,0) */
_v_add_co_u32 v1, vcc, v1, 13                      // coord1.1: coord1Vgpr += d1*sg1*VW + vc1

/* Fix for UseInitialStridesCD, emitAddressSetupCode */
s_mul_i32 s54, s[sgprStrideC1J], 13                // scale stride
_v_add_u32 v2, v2, s54                             // ROWINC- Move cinRowPtr to next row
s_mul_i32 s54, s[sgprStrideD1J], 13                // scale stride
_v_add_u32 v3, v3, s54                             // Move coutRowPtr to next row
v_cmp_lt_u32 s[54:55], v0, s[sgprSizeI]            // coord0 < size0
v_cmp_lt_u32 s[58:59], v1, s[sgprSizeJ]            // coord1 < size1
s_and_b64 s[58:59], s[54:55], s[58:59]             // in0 && in1
_v_add_lshl_u32 v39, v3, v0, 0x0                   // scaleToBpe: accumulate d0 lower and *= bpe into Cin addr
v_cndmask_b32 v39, -1, v39, s[58:59]               // LDD clip if OOB. offset
/* (d1,vc1,d0,vc0)=(2,1,0,0) */
_v_add_co_u32 v1, vcc, v1, 1                       // coord1.1: coord1Vgpr += d1*sg1*VW + vc1

/* Fix for UseInitialStridesCD, emitAddressSetupCode */
_v_add_u32 v2, v2, s[sgprStrideC1J]                // ROWINC- Move cinRowPtr to next row
_v_add_u32 v3, v3, s[sgprStrideD1J]                // Move coutRowPtr to next row
v_cmp_lt_u32 s[54:55], v0, s[sgprSizeI]            // coord0 < size0
v_cmp_lt_u32 s[58:59], v1, s[sgprSizeJ]            // coord1 < size1
s_and_b64 s[58:59], s[54:55], s[58:59]             // in0 && in1
_v_add_lshl_u32 v56, v3, v0, 0x0                   // scaleToBpe: accumulate d0 lower and *= bpe into Cin addr
v_cndmask_b32 v56, -1, v56, s[58:59]               // LDD clip if OOB. offset
/* (d1,vc1,d0,vc0)=(2,2,0,0) */
_v_add_co_u32 v1, vcc, v1, 1                       // coord1.1: coord1Vgpr += d1*sg1*VW + vc1

/* Fix for UseInitialStridesCD, emitAddressSetupCode */
_v_add_u32 v2, v2, s[sgprStrideC1J]                // ROWINC- Move cinRowPtr to next row
_v_add_u32 v3, v3, s[sgprStrideD1J]                // Move coutRowPtr to next row
v_cmp_lt_u32 s[54:55], v0, s[sgprSizeI]            // coord0 < size0
v_cmp_lt_u32 s[58:59], v1, s[sgprSizeJ]            // coord1 < size1
s_and_b64 s[58:59], s[54:55], s[58:59]             // in0 && in1
_v_add_lshl_u32 v57, v3, v0, 0x0                   // scaleToBpe: accumulate d0 lower and *= bpe into Cin addr
v_cndmask_b32 v57, -1, v57, s[58:59]               // LDD clip if OOB. offset
/* (d1,vc1,d0,vc0)=(2,3,0,0) */
_v_add_co_u32 v1, vcc, v1, 1                       // coord1.1: coord1Vgpr += d1*sg1*VW + vc1

/* Fix for UseInitialStridesCD, emitAddressSetupCode */
_v_add_u32 v2, v2, s[sgprStrideC1J]                // ROWINC- Move cinRowPtr to next row
_v_add_u32 v3, v3, s[sgprStrideD1J]                // Move coutRowPtr to next row
v_cmp_lt_u32 s[54:55], v0, s[sgprSizeI]            // coord0 < size0
v_cmp_lt_u32 s[58:59], v1, s[sgprSizeJ]            // coord1 < size1
s_and_b64 s[58:59], s[54:55], s[58:59]             // in0 && in1
_v_add_lshl_u32 v58, v3, v0, 0x0                   // scaleToBpe: accumulate d0 lower and *= bpe into Cin addr
v_cndmask_b32 v58, -1, v58, s[58:59]               // LDD clip if OOB. offset
/* (d1,vc1,d0,vc0)=(3,0,0,0) */
_v_add_co_u32 v1, vcc, v1, 13                      // coord1.1: coord1Vgpr += d1*sg1*VW + vc1

/* Fix for UseInitialStridesCD, emitAddressSetupCode */
s_mul_i32 s54, s[sgprStrideC1J], 13                // scale stride
_v_add_u32 v2, v2, s54                             // ROWINC- Move cinRowPtr to next row
s_mul_i32 s54, s[sgprStrideD1J], 13                // scale stride
_v_add_u32 v3, v3, s54                             // Move coutRowPtr to next row
v_cmp_lt_u32 s[54:55], v0, s[sgprSizeI]            // coord0 < size0
v_cmp_lt_u32 s[58:59], v1, s[sgprSizeJ]            // coord1 < size1
s_and_b64 s[58:59], s[54:55], s[58:59]             // in0 && in1
_v_add_lshl_u32 v59, v3, v0, 0x0                   // scaleToBpe: accumulate d0 lower and *= bpe into Cin addr
v_cndmask_b32 v59, -1, v59, s[58:59]               // LDD clip if OOB. offset
/* (d1,vc1,d0,vc0)=(3,1,0,0) */
_v_add_co_u32 v1, vcc, v1, 1                       // coord1.1: coord1Vgpr += d1*sg1*VW + vc1

/* Fix for UseInitialStridesCD, emitAddressSetupCode */
_v_add_u32 v2, v2, s[sgprStrideC1J]                // ROWINC- Move cinRowPtr to next row
_v_add_u32 v3, v3, s[sgprStrideD1J]                // Move coutRowPtr to next row
v_cmp_lt_u32 s[54:55], v0, s[sgprSizeI]            // coord0 < size0
v_cmp_lt_u32 s[58:59], v1, s[sgprSizeJ]            // coord1 < size1
s_and_b64 s[58:59], s[54:55], s[58:59]             // in0 && in1
_v_add_lshl_u32 v76, v3, v0, 0x0                   // scaleToBpe: accumulate d0 lower and *= bpe into Cin addr
v_cndmask_b32 v76, -1, v76, s[58:59]               // LDD clip if OOB. offset
/* (d1,vc1,d0,vc0)=(3,2,0,0) */
_v_add_co_u32 v1, vcc, v1, 1                       // coord1.1: coord1Vgpr += d1*sg1*VW + vc1

/* Fix for UseInitialStridesCD, emitAddressSetupCode */
_v_add_u32 v2, v2, s[sgprStrideC1J]                // ROWINC- Move cinRowPtr to next row
_v_add_u32 v3, v3, s[sgprStrideD1J]                // Move coutRowPtr to next row
v_cmp_lt_u32 s[54:55], v0, s[sgprSizeI]            // coord0 < size0
v_cmp_lt_u32 s[58:59], v1, s[sgprSizeJ]            // coord1 < size1
s_and_b64 s[58:59], s[54:55], s[58:59]             // in0 && in1
_v_add_lshl_u32 v77, v3, v0, 0x0                   // scaleToBpe: accumulate d0 lower and *= bpe into Cin addr
v_cndmask_b32 v77, -1, v77, s[58:59]               // LDD clip if OOB. offset
/* (d1,vc1,d0,vc0)=(3,3,0,0) */
_v_add_co_u32 v1, vcc, v1, 1                       // coord1.1: coord1Vgpr += d1*sg1*VW + vc1

/* Fix for UseInitialStridesCD, emitAddressSetupCode */
_v_add_u32 v2, v2, s[sgprStrideC1J]                // ROWINC- Move cinRowPtr to next row
_v_add_u32 v3, v3, s[sgprStrideD1J]                // Move coutRowPtr to next row
v_cmp_lt_u32 s[54:55], v0, s[sgprSizeI]            // coord0 < size0
v_cmp_lt_u32 s[58:59], v1, s[sgprSizeJ]            // coord1 < size1
s_and_b64 s[58:59], s[54:55], s[58:59]             // in0 && in1
_v_add_lshl_u32 v78, v3, v0, 0x0                   // scaleToBpe: accumulate d0 lower and *= bpe into Cin addr
v_cndmask_b32 v78, -1, v78, s[58:59]               // LDD clip if OOB. offset
/* (d1,vc1,d0,vc0)=(4,0,0,0) */
_v_add_co_u32 v1, vcc, v1, 13                      // coord1.1: coord1Vgpr += d1*sg1*VW + vc1

/* Fix for UseInitialStridesCD, emitAddressSetupCode */
s_mul_i32 s54, s[sgprStrideC1J], 13                // scale stride
_v_add_u32 v2, v2, s54                             // ROWINC- Move cinRowPtr to next row
s_mul_i32 s54, s[sgprStrideD1J], 13                // scale stride
_v_add_u32 v3, v3, s54                             // Move coutRowPtr to next row
v_cmp_lt_u32 s[54:55], v0, s[sgprSizeI]            // coord0 < size0
v_cmp_lt_u32 s[58:59], v1, s[sgprSizeJ]            // coord1 < size1
s_and_b64 s[58:59], s[54:55], s[58:59]             // in0 && in1
_v_add_lshl_u32 v79, v3, v0, 0x0                   // scaleToBpe: accumulate d0 lower and *= bpe into Cin addr
v_cndmask_b32 v79, -1, v79, s[58:59]               // LDD clip if OOB. offset
/* (d1,vc1,d0,vc0)=(4,1,0,0) */
_v_add_co_u32 v1, vcc, v1, 1                       // coord1.1: coord1Vgpr += d1*sg1*VW + vc1

/* Fix for UseInitialStridesCD, emitAddressSetupCode */
_v_add_u32 v2, v2, s[sgprStrideC1J]                // ROWINC- Move cinRowPtr to next row
_v_add_u32 v3, v3, s[sgprStrideD1J]                // Move coutRowPtr to next row
v_cmp_lt_u32 s[54:55], v0, s[sgprSizeI]            // coord0 < size0
v_cmp_lt_u32 s[58:59], v1, s[sgprSizeJ]            // coord1 < size1
s_and_b64 s[58:59], s[54:55], s[58:59]             // in0 && in1
_v_add_lshl_u32 v96, v3, v0, 0x0                   // scaleToBpe: accumulate d0 lower and *= bpe into Cin addr
v_cndmask_b32 v96, -1, v96, s[58:59]               // LDD clip if OOB. offset
/* (d1,vc1,d0,vc0)=(4,2,0,0) */
_v_add_co_u32 v1, vcc, v1, 1                       // coord1.1: coord1Vgpr += d1*sg1*VW + vc1

/* Fix for UseInitialStridesCD, emitAddressSetupCode */
_v_add_u32 v2, v2, s[sgprStrideC1J]                // ROWINC- Move cinRowPtr to next row
_v_add_u32 v3, v3, s[sgprStrideD1J]                // Move coutRowPtr to next row
v_cmp_lt_u32 s[54:55], v0, s[sgprSizeI]            // coord0 < size0
v_cmp_lt_u32 s[58:59], v1, s[sgprSizeJ]            // coord1 < size1
s_and_b64 s[58:59], s[54:55], s[58:59]             // in0 && in1
_v_add_lshl_u32 v97, v3, v0, 0x0                   // scaleToBpe: accumulate d0 lower and *= bpe into Cin addr
v_cndmask_b32 v97, -1, v97, s[58:59]               // LDD clip if OOB. offset
/* (d1,vc1,d0,vc0)=(4,3,0,0) */
_v_add_co_u32 v1, vcc, v1, 1                       // coord1.1: coord1Vgpr += d1*sg1*VW + vc1

/* Fix for UseInitialStridesCD, emitAddressSetupCode */
_v_add_u32 v2, v2, s[sgprStrideC1J]                // ROWINC- Move cinRowPtr to next row
_v_add_u32 v3, v3, s[sgprStrideD1J]                // Move coutRowPtr to next row
v_cmp_lt_u32 s[54:55], v0, s[sgprSizeI]            // coord0 < size0
v_cmp_lt_u32 s[58:59], v1, s[sgprSizeJ]            // coord1 < size1
s_and_b64 s[58:59], s[54:55], s[58:59]             // in0 && in1
_v_add_lshl_u32 v98, v3, v0, 0x0                   // scaleToBpe: accumulate d0 lower and *= bpe into Cin addr
v_cndmask_b32 v98, -1, v98, s[58:59]               // LDD clip if OOB. offset
/* (d1,vc1,d0,vc0)=(5,0,0,0) */
_v_add_co_u32 v1, vcc, v1, 13                      // coord1.1: coord1Vgpr += d1*sg1*VW + vc1

/* Fix for UseInitialStridesCD, emitAddressSetupCode */
s_mul_i32 s54, s[sgprStrideC1J], 13                // scale stride
_v_add_u32 v2, v2, s54                             // ROWINC- Move cinRowPtr to next row
s_mul_i32 s54, s[sgprStrideD1J], 13                // scale stride
_v_add_u32 v3, v3, s54                             // Move coutRowPtr to next row
v_cmp_lt_u32 s[54:55], v0, s[sgprSizeI]            // coord0 < size0
v_cmp_lt_u32 s[58:59], v1, s[sgprSizeJ]            // coord1 < size1
s_and_b64 s[58:59], s[54:55], s[58:59]             // in0 && in1
_v_add_lshl_u32 v99, v3, v0, 0x0                   // scaleToBpe: accumulate d0 lower and *= bpe into Cin addr
v_cndmask_b32 v99, -1, v99, s[58:59]               // LDD clip if OOB. offset
/* (d1,vc1,d0,vc0)=(5,1,0,0) */
_v_add_co_u32 v1, vcc, v1, 1                       // coord1.1: coord1Vgpr += d1*sg1*VW + vc1

/* Fix for UseInitialStridesCD, emitAddressSetupCode */
_v_add_u32 v2, v2, s[sgprStrideC1J]                // ROWINC- Move cinRowPtr to next row
_v_add_u32 v3, v3, s[sgprStrideD1J]                // Move coutRowPtr to next row
v_cmp_lt_u32 s[54:55], v0, s[sgprSizeI]            // coord0 < size0
v_cmp_lt_u32 s[58:59], v1, s[sgprSizeJ]            // coord1 < size1
s_and_b64 s[58:59], s[54:55], s[58:59]             // in0 && in1
_v_add_lshl_u32 v116, v3, v0, 0x0                  // scaleToBpe: accumulate d0 lower and *= bpe into Cin addr
v_cndmask_b32 v116, -1, v116, s[58:59]             // LDD clip if OOB. offset
/* (d1,vc1,d0,vc0)=(5,2,0,0) */
_v_add_co_u32 v1, vcc, v1, 1                       // coord1.1: coord1Vgpr += d1*sg1*VW + vc1

/* Fix for UseInitialStridesCD, emitAddressSetupCode */
_v_add_u32 v2, v2, s[sgprStrideC1J]                // ROWINC- Move cinRowPtr to next row
_v_add_u32 v3, v3, s[sgprStrideD1J]                // Move coutRowPtr to next row
v_cmp_lt_u32 s[54:55], v0, s[sgprSizeI]            // coord0 < size0
v_cmp_lt_u32 s[58:59], v1, s[sgprSizeJ]            // coord1 < size1
s_and_b64 s[58:59], s[54:55], s[58:59]             // in0 && in1
_v_add_lshl_u32 v117, v3, v0, 0x0                  // scaleToBpe: accumulate d0 lower and *= bpe into Cin addr
v_cndmask_b32 v117, -1, v117, s[58:59]             // LDD clip if OOB. offset
/* (d1,vc1,d0,vc0)=(5,3,0,0) */
_v_add_co_u32 v1, vcc, v1, 1                       // coord1.1: coord1Vgpr += d1*sg1*VW + vc1

/* Fix for UseInitialStridesCD, emitAddressSetupCode */
_v_add_u32 v2, v2, s[sgprStrideC1J]                // ROWINC- Move cinRowPtr to next row
_v_add_u32 v3, v3, s[sgprStrideD1J]                // Move coutRowPtr to next row
v_cmp_lt_u32 s[54:55], v0, s[sgprSizeI]            // coord0 < size0
v_cmp_lt_u32 s[58:59], v1, s[sgprSizeJ]            // coord1 < size1
s_and_b64 s[58:59], s[54:55], s[58:59]             // in0 && in1
_v_add_lshl_u32 v118, v3, v0, 0x0                  // scaleToBpe: accumulate d0 lower and *= bpe into Cin addr
v_cndmask_b32 v118, -1, v118, s[58:59]             // LDD clip if OOB. offset
/* (d1,vc1,d0,vc0)=(6,0,0,0) */
_v_add_co_u32 v1, vcc, v1, 13                      // coord1.1: coord1Vgpr += d1*sg1*VW + vc1

/* Fix for UseInitialStridesCD, emitAddressSetupCode */
s_mul_i32 s54, s[sgprStrideC1J], 13                // scale stride
_v_add_u32 v2, v2, s54                             // ROWINC- Move cinRowPtr to next row
s_mul_i32 s54, s[sgprStrideD1J], 13                // scale stride
_v_add_u32 v3, v3, s54                             // Move coutRowPtr to next row
v_cmp_lt_u32 s[54:55], v0, s[sgprSizeI]            // coord0 < size0
v_cmp_lt_u32 s[58:59], v1, s[sgprSizeJ]            // coord1 < size1
s_and_b64 s[58:59], s[54:55], s[58:59]             // in0 && in1
_v_add_lshl_u32 v119, v3, v0, 0x0                  // scaleToBpe: accumulate d0 lower and *= bpe into Cin addr
v_cndmask_b32 v119, -1, v119, s[58:59]             // LDD clip if OOB. offset
/* (d1,vc1,d0,vc0)=(6,1,0,0) */
_v_add_co_u32 v1, vcc, v1, 1                       // coord1.1: coord1Vgpr += d1*sg1*VW + vc1

/* Fix for UseInitialStridesCD, emitAddressSetupCode */
_v_add_u32 v2, v2, s[sgprStrideC1J]                // ROWINC- Move cinRowPtr to next row
_v_add_u32 v3, v3, s[sgprStrideD1J]                // Move coutRowPtr to next row
v_cmp_lt_u32 s[54:55], v0, s[sgprSizeI]            // coord0 < size0
v_cmp_lt_u32 s[58:59], v1, s[sgprSizeJ]            // coord1 < size1
s_and_b64 s[58:59], s[54:55], s[58:59]             // in0 && in1
_v_add_lshl_u32 v140, v3, v0, 0x0                  // scaleToBpe: accumulate d0 lower and *= bpe into Cin addr
v_cndmask_b32 v140, -1, v140, s[58:59]             // LDD clip if OOB. offset
/* (d1,vc1,d0,vc0)=(6,2,0,0) */
_v_add_co_u32 v1, vcc, v1, 1                       // coord1.1: coord1Vgpr += d1*sg1*VW + vc1

/* Fix for UseInitialStridesCD, emitAddressSetupCode */
_v_add_u32 v2, v2, s[sgprStrideC1J]                // ROWINC- Move cinRowPtr to next row
_v_add_u32 v3, v3, s[sgprStrideD1J]                // Move coutRowPtr to next row
v_cmp_lt_u32 s[54:55], v0, s[sgprSizeI]            // coord0 < size0
v_cmp_lt_u32 s[58:59], v1, s[sgprSizeJ]            // coord1 < size1
s_and_b64 s[58:59], s[54:55], s[58:59]             // in0 && in1
_v_add_lshl_u32 v141, v3, v0, 0x0                  // scaleToBpe: accumulate d0 lower and *= bpe into Cin addr
v_cndmask_b32 v141, -1, v141, s[58:59]             // LDD clip if OOB. offset
/* (d1,vc1,d0,vc0)=(6,3,0,0) */
_v_add_co_u32 v1, vcc, v1, 1                       // coord1.1: coord1Vgpr += d1*sg1*VW + vc1

/* Fix for UseInitialStridesCD, emitAddressSetupCode */
_v_add_u32 v2, v2, s[sgprStrideC1J]                // ROWINC- Move cinRowPtr to next row
_v_add_u32 v3, v3, s[sgprStrideD1J]                // Move coutRowPtr to next row
v_cmp_lt_u32 s[54:55], v0, s[sgprSizeI]            // coord0 < size0
v_cmp_lt_u32 s[58:59], v1, s[sgprSizeJ]            // coord1 < size1
s_and_b64 s[58:59], s[54:55], s[58:59]             // in0 && in1
_v_add_lshl_u32 v142, v3, v0, 0x0                  // scaleToBpe: accumulate d0 lower and *= bpe into Cin addr
v_cndmask_b32 v142, -1, v142, s[58:59]             // LDD clip if OOB. offset
/* (d1,vc1,d0,vc0)=(7,0,0,0) */
_v_add_co_u32 v1, vcc, v1, 13                      // coord1.1: coord1Vgpr += d1*sg1*VW + vc1

/* Fix for UseInitialStridesCD, emitAddressSetupCode */
s_mul_i32 s54, s[sgprStrideC1J], 13                // scale stride
_v_add_u32 v2, v2, s54                             // ROWINC- Move cinRowPtr to next row
s_mul_i32 s54, s[sgprStrideD1J], 13                // scale stride
_v_add_u32 v3, v3, s54                             // Move coutRowPtr to next row
v_cmp_lt_u32 s[54:55], v0, s[sgprSizeI]            // coord0 < size0
v_cmp_lt_u32 s[58:59], v1, s[sgprSizeJ]            // coord1 < size1
s_and_b64 s[58:59], s[54:55], s[58:59]             // in0 && in1
_v_add_lshl_u32 v143, v3, v0, 0x0                  // scaleToBpe: accumulate d0 lower and *= bpe into Cin addr
v_cndmask_b32 v143, -1, v143, s[58:59]             // LDD clip if OOB. offset
	;; [unrolled: 46-line block ×6, first 2 shown]
/* (d1,vc1,d0,vc0)=(11,1,0,0) */
_v_add_co_u32 v1, vcc, v1, 1                       // coord1.1: coord1Vgpr += d1*sg1*VW + vc1

/* Fix for UseInitialStridesCD, emitAddressSetupCode */
_v_add_u32 v2, v2, s[sgprStrideC1J]                // ROWINC- Move cinRowPtr to next row
_v_add_u32 v3, v3, s[sgprStrideD1J]                // Move coutRowPtr to next row
v_cmp_lt_u32 s[54:55], v0, s[sgprSizeI]            // coord0 < size0
v_cmp_lt_u32 s[58:59], v1, s[sgprSizeJ]            // coord1 < size1
s_and_b64 s[58:59], s[54:55], s[58:59]             // in0 && in1
_v_add_lshl_u32 v240, v3, v0, 0x0                  // scaleToBpe: accumulate d0 lower and *= bpe into Cin addr
v_cndmask_b32 v240, -1, v240, s[58:59]             // LDD clip if OOB. offset
/* (d1,vc1,d0,vc0)=(11,2,0,0) */
_v_add_co_u32 v1, vcc, v1, 1                       // coord1.1: coord1Vgpr += d1*sg1*VW + vc1

/* Fix for UseInitialStridesCD, emitAddressSetupCode */
_v_add_u32 v2, v2, s[sgprStrideC1J]                // ROWINC- Move cinRowPtr to next row
_v_add_u32 v3, v3, s[sgprStrideD1J]                // Move coutRowPtr to next row
v_cmp_lt_u32 s[54:55], v0, s[sgprSizeI]            // coord0 < size0
v_cmp_lt_u32 s[58:59], v1, s[sgprSizeJ]            // coord1 < size1
s_and_b64 s[58:59], s[54:55], s[58:59]             // in0 && in1
_v_add_lshl_u32 v241, v3, v0, 0x0                  // scaleToBpe: accumulate d0 lower and *= bpe into Cin addr
v_cndmask_b32 v241, -1, v241, s[58:59]             // LDD clip if OOB. offset
v_accvgpr_read_b32 v[vgprValuC+12], acc0 // copy acc to vreg[0]
v_accvgpr_read_b32 v[vgprValuC+13], acc4 // copy acc to vreg[1]
v_accvgpr_read_b32 v[vgprValuC+14], acc8 // copy acc to vreg[2]
v_accvgpr_read_b32 v[vgprValuC+15], acc12 // copy acc to vreg[3]
v_accvgpr_read_b32 v[vgprValuC+20], acc1 // copy acc to vreg[4]
v_accvgpr_read_b32 v[vgprValuC+21], acc5 // copy acc to vreg[5]
v_accvgpr_read_b32 v[vgprValuC+22], acc9 // copy acc to vreg[6]
v_accvgpr_read_b32 v[vgprValuC+23], acc13 // copy acc to vreg[7]
v_accvgpr_read_b32 v[vgprValuC+24], acc2 // copy acc to vreg[8]
v_accvgpr_read_b32 v[vgprValuC+25], acc6 // copy acc to vreg[9]
v_accvgpr_read_b32 v[vgprValuC+26], acc10 // copy acc to vreg[10]
v_accvgpr_read_b32 v[vgprValuC+27], acc14 // copy acc to vreg[11]
v_accvgpr_read_b32 v[vgprValuC+28], acc3 // copy acc to vreg[12]
v_accvgpr_read_b32 v[vgprValuC+29], acc7 // copy acc to vreg[13]
v_accvgpr_read_b32 v[vgprValuC+30], acc11 // copy acc to vreg[14]
v_accvgpr_read_b32 v[vgprValuC+31], acc15 // copy acc to vreg[15]
v_accvgpr_read_b32 v[vgprValuC+32], acc16 // copy acc to vreg[16]
v_accvgpr_read_b32 v[vgprValuC+33], acc20 // copy acc to vreg[17]
v_accvgpr_read_b32 v[vgprValuC+34], acc24 // copy acc to vreg[18]
v_accvgpr_read_b32 v[vgprValuC+35], acc28 // copy acc to vreg[19]
v_accvgpr_read_b32 v[vgprValuC+40], acc17 // copy acc to vreg[20]
v_accvgpr_read_b32 v[vgprValuC+41], acc21 // copy acc to vreg[21]
v_accvgpr_read_b32 v[vgprValuC+42], acc25 // copy acc to vreg[22]
v_accvgpr_read_b32 v[vgprValuC+43], acc29 // copy acc to vreg[23]
v_accvgpr_read_b32 v[vgprValuC+44], acc18 // copy acc to vreg[24]
v_accvgpr_read_b32 v[vgprValuC+45], acc22 // copy acc to vreg[25]
v_accvgpr_read_b32 v[vgprValuC+46], acc26 // copy acc to vreg[26]
v_accvgpr_read_b32 v[vgprValuC+47], acc30 // copy acc to vreg[27]
v_accvgpr_read_b32 v[vgprValuC+48], acc19 // copy acc to vreg[28]
v_accvgpr_read_b32 v[vgprValuC+49], acc23 // copy acc to vreg[29]
v_accvgpr_read_b32 v[vgprValuC+50], acc27 // copy acc to vreg[30]
v_accvgpr_read_b32 v[vgprValuC+51], acc31 // copy acc to vreg[31]
v_accvgpr_read_b32 v[vgprValuC+52], acc32 // copy acc to vreg[32]
v_accvgpr_read_b32 v[vgprValuC+53], acc36 // copy acc to vreg[33]
v_accvgpr_read_b32 v[vgprValuC+54], acc40 // copy acc to vreg[34]
v_accvgpr_read_b32 v[vgprValuC+55], acc44 // copy acc to vreg[35]
v_accvgpr_read_b32 v[vgprValuC+60], acc33 // copy acc to vreg[36]
v_accvgpr_read_b32 v[vgprValuC+61], acc37 // copy acc to vreg[37]
v_accvgpr_read_b32 v[vgprValuC+62], acc41 // copy acc to vreg[38]
v_accvgpr_read_b32 v[vgprValuC+63], acc45 // copy acc to vreg[39]
v_accvgpr_read_b32 v[vgprValuC+64], acc34 // copy acc to vreg[40]
v_accvgpr_read_b32 v[vgprValuC+65], acc38 // copy acc to vreg[41]
v_accvgpr_read_b32 v[vgprValuC+66], acc42 // copy acc to vreg[42]
v_accvgpr_read_b32 v[vgprValuC+67], acc46 // copy acc to vreg[43]
v_accvgpr_read_b32 v[vgprValuC+68], acc35 // copy acc to vreg[44]
v_accvgpr_read_b32 v[vgprValuC+69], acc39 // copy acc to vreg[45]
v_accvgpr_read_b32 v[vgprValuC+70], acc43 // copy acc to vreg[46]
v_accvgpr_read_b32 v[vgprValuC+71], acc47 // copy acc to vreg[47]
v_accvgpr_read_b32 v[vgprValuC+72], acc48 // copy acc to vreg[48]
v_accvgpr_read_b32 v[vgprValuC+73], acc52 // copy acc to vreg[49]
v_accvgpr_read_b32 v[vgprValuC+74], acc56 // copy acc to vreg[50]
v_accvgpr_read_b32 v[vgprValuC+75], acc60 // copy acc to vreg[51]
v_accvgpr_read_b32 v[vgprValuC+80], acc49 // copy acc to vreg[52]
v_accvgpr_read_b32 v[vgprValuC+81], acc53 // copy acc to vreg[53]
v_accvgpr_read_b32 v[vgprValuC+82], acc57 // copy acc to vreg[54]
v_accvgpr_read_b32 v[vgprValuC+83], acc61 // copy acc to vreg[55]
v_accvgpr_read_b32 v[vgprValuC+84], acc50 // copy acc to vreg[56]
v_accvgpr_read_b32 v[vgprValuC+85], acc54 // copy acc to vreg[57]
v_accvgpr_read_b32 v[vgprValuC+86], acc58 // copy acc to vreg[58]
v_accvgpr_read_b32 v[vgprValuC+87], acc62 // copy acc to vreg[59]
v_accvgpr_read_b32 v[vgprValuC+88], acc51 // copy acc to vreg[60]
v_accvgpr_read_b32 v[vgprValuC+89], acc55 // copy acc to vreg[61]
v_accvgpr_read_b32 v[vgprValuC+90], acc59 // copy acc to vreg[62]
v_accvgpr_read_b32 v[vgprValuC+91], acc63 // copy acc to vreg[63]
v_accvgpr_read_b32 v[vgprValuC+92], acc64 // copy acc to vreg[64]
v_accvgpr_read_b32 v[vgprValuC+93], acc68 // copy acc to vreg[65]
v_accvgpr_read_b32 v[vgprValuC+94], acc72 // copy acc to vreg[66]
v_accvgpr_read_b32 v[vgprValuC+95], acc76 // copy acc to vreg[67]
v_accvgpr_read_b32 v[vgprValuC+100], acc65 // copy acc to vreg[68]
v_accvgpr_read_b32 v[vgprValuC+101], acc69 // copy acc to vreg[69]
v_accvgpr_read_b32 v[vgprValuC+102], acc73 // copy acc to vreg[70]
v_accvgpr_read_b32 v[vgprValuC+103], acc77 // copy acc to vreg[71]
v_accvgpr_read_b32 v[vgprValuC+104], acc66 // copy acc to vreg[72]
v_accvgpr_read_b32 v[vgprValuC+105], acc70 // copy acc to vreg[73]
v_accvgpr_read_b32 v[vgprValuC+106], acc74 // copy acc to vreg[74]
v_accvgpr_read_b32 v[vgprValuC+107], acc78 // copy acc to vreg[75]
v_accvgpr_read_b32 v[vgprValuC+108], acc67 // copy acc to vreg[76]
v_accvgpr_read_b32 v[vgprValuC+109], acc71 // copy acc to vreg[77]
v_accvgpr_read_b32 v[vgprValuC+110], acc75 // copy acc to vreg[78]
v_accvgpr_read_b32 v[vgprValuC+111], acc79 // copy acc to vreg[79]
v_accvgpr_read_b32 v[vgprValuC+112], acc80 // copy acc to vreg[80]
v_accvgpr_read_b32 v[vgprValuC+113], acc84 // copy acc to vreg[81]
v_accvgpr_read_b32 v[vgprValuC+114], acc88 // copy acc to vreg[82]
v_accvgpr_read_b32 v[vgprValuC+115], acc92 // copy acc to vreg[83]
v_accvgpr_read_b32 v[vgprValuC+120], acc81 // copy acc to vreg[84]
v_accvgpr_read_b32 v[vgprValuC+121], acc85 // copy acc to vreg[85]
v_accvgpr_read_b32 v[vgprValuC+122], acc89 // copy acc to vreg[86]
v_accvgpr_read_b32 v[vgprValuC+123], acc93 // copy acc to vreg[87]
v_accvgpr_read_b32 v[vgprValuC+128], acc82 // copy acc to vreg[88]
v_accvgpr_read_b32 v[vgprValuC+129], acc86 // copy acc to vreg[89]
v_accvgpr_read_b32 v[vgprValuC+130], acc90 // copy acc to vreg[90]
v_accvgpr_read_b32 v[vgprValuC+131], acc94 // copy acc to vreg[91]
v_accvgpr_read_b32 v[vgprValuC+132], acc83 // copy acc to vreg[92]
v_accvgpr_read_b32 v[vgprValuC+133], acc87 // copy acc to vreg[93]
v_accvgpr_read_b32 v[vgprValuC+134], acc91 // copy acc to vreg[94]
v_accvgpr_read_b32 v[vgprValuC+135], acc95 // copy acc to vreg[95]
v_accvgpr_read_b32 v[vgprValuC+136], acc96 // copy acc to vreg[96]
v_accvgpr_read_b32 v[vgprValuC+137], acc100 // copy acc to vreg[97]
v_accvgpr_read_b32 v[vgprValuC+138], acc104 // copy acc to vreg[98]
v_accvgpr_read_b32 v[vgprValuC+139], acc108 // copy acc to vreg[99]
v_accvgpr_read_b32 v[vgprValuC+144], acc97 // copy acc to vreg[100]
v_accvgpr_read_b32 v[vgprValuC+145], acc101 // copy acc to vreg[101]
v_accvgpr_read_b32 v[vgprValuC+146], acc105 // copy acc to vreg[102]
v_accvgpr_read_b32 v[vgprValuC+147], acc109 // copy acc to vreg[103]
v_accvgpr_read_b32 v[vgprValuC+148], acc98 // copy acc to vreg[104]
v_accvgpr_read_b32 v[vgprValuC+149], acc102 // copy acc to vreg[105]
v_accvgpr_read_b32 v[vgprValuC+150], acc106 // copy acc to vreg[106]
v_accvgpr_read_b32 v[vgprValuC+151], acc110 // copy acc to vreg[107]
v_accvgpr_read_b32 v[vgprValuC+152], acc99 // copy acc to vreg[108]
v_accvgpr_read_b32 v[vgprValuC+153], acc103 // copy acc to vreg[109]
v_accvgpr_read_b32 v[vgprValuC+154], acc107 // copy acc to vreg[110]
v_accvgpr_read_b32 v[vgprValuC+155], acc111 // copy acc to vreg[111]
v_accvgpr_read_b32 v[vgprValuC+156], acc112 // copy acc to vreg[112]
v_accvgpr_read_b32 v[vgprValuC+157], acc116 // copy acc to vreg[113]
v_accvgpr_read_b32 v[vgprValuC+158], acc120 // copy acc to vreg[114]
v_accvgpr_read_b32 v[vgprValuC+159], acc124 // copy acc to vreg[115]
v_accvgpr_read_b32 v[vgprValuC+164], acc113 // copy acc to vreg[116]
v_accvgpr_read_b32 v[vgprValuC+165], acc117 // copy acc to vreg[117]
v_accvgpr_read_b32 v[vgprValuC+166], acc121 // copy acc to vreg[118]
v_accvgpr_read_b32 v[vgprValuC+167], acc125 // copy acc to vreg[119]
v_accvgpr_read_b32 v[vgprValuC+168], acc114 // copy acc to vreg[120]
v_accvgpr_read_b32 v[vgprValuC+169], acc118 // copy acc to vreg[121]
v_accvgpr_read_b32 v[vgprValuC+170], acc122 // copy acc to vreg[122]
v_accvgpr_read_b32 v[vgprValuC+171], acc126 // copy acc to vreg[123]
v_accvgpr_read_b32 v[vgprValuC+172], acc115 // copy acc to vreg[124]
v_accvgpr_read_b32 v[vgprValuC+173], acc119 // copy acc to vreg[125]
v_accvgpr_read_b32 v[vgprValuC+174], acc123 // copy acc to vreg[126]
v_accvgpr_read_b32 v[vgprValuC+175], acc127 // copy acc to vreg[127]
v_accvgpr_read_b32 v[vgprValuC+176], acc128 // copy acc to vreg[128]
v_accvgpr_read_b32 v[vgprValuC+177], acc132 // copy acc to vreg[129]
v_accvgpr_read_b32 v[vgprValuC+178], acc136 // copy acc to vreg[130]
v_accvgpr_read_b32 v[vgprValuC+179], acc140 // copy acc to vreg[131]
v_accvgpr_read_b32 v[vgprValuC+184], acc129 // copy acc to vreg[132]
v_accvgpr_read_b32 v[vgprValuC+185], acc133 // copy acc to vreg[133]
v_accvgpr_read_b32 v[vgprValuC+186], acc137 // copy acc to vreg[134]
v_accvgpr_read_b32 v[vgprValuC+187], acc141 // copy acc to vreg[135]
v_accvgpr_read_b32 v[vgprValuC+188], acc130 // copy acc to vreg[136]
v_accvgpr_read_b32 v[vgprValuC+189], acc134 // copy acc to vreg[137]
v_accvgpr_read_b32 v[vgprValuC+190], acc138 // copy acc to vreg[138]
v_accvgpr_read_b32 v[vgprValuC+191], acc142 // copy acc to vreg[139]
v_accvgpr_read_b32 v[vgprValuC+192], acc131 // copy acc to vreg[140]
v_accvgpr_read_b32 v[vgprValuC+193], acc135 // copy acc to vreg[141]
v_accvgpr_read_b32 v[vgprValuC+194], acc139 // copy acc to vreg[142]
v_accvgpr_read_b32 v[vgprValuC+195], acc143 // copy acc to vreg[143]
v_accvgpr_read_b32 v[vgprValuC+196], acc144 // copy acc to vreg[144]
v_accvgpr_read_b32 v[vgprValuC+197], acc148 // copy acc to vreg[145]
v_accvgpr_read_b32 v[vgprValuC+198], acc152 // copy acc to vreg[146]
v_accvgpr_read_b32 v[vgprValuC+199], acc156 // copy acc to vreg[147]
v_accvgpr_read_b32 v[vgprValuC+204], acc145 // copy acc to vreg[148]
v_accvgpr_read_b32 v[vgprValuC+205], acc149 // copy acc to vreg[149]
v_accvgpr_read_b32 v[vgprValuC+206], acc153 // copy acc to vreg[150]
v_accvgpr_read_b32 v[vgprValuC+207], acc157 // copy acc to vreg[151]
v_accvgpr_read_b32 v[vgprValuC+208], acc146 // copy acc to vreg[152]
v_accvgpr_read_b32 v[vgprValuC+209], acc150 // copy acc to vreg[153]
v_accvgpr_read_b32 v[vgprValuC+210], acc154 // copy acc to vreg[154]
v_accvgpr_read_b32 v[vgprValuC+211], acc158 // copy acc to vreg[155]
v_accvgpr_read_b32 v[vgprValuC+212], acc147 // copy acc to vreg[156]
v_accvgpr_read_b32 v[vgprValuC+213], acc151 // copy acc to vreg[157]
v_accvgpr_read_b32 v[vgprValuC+214], acc155 // copy acc to vreg[158]
v_accvgpr_read_b32 v[vgprValuC+215], acc159 // copy acc to vreg[159]
v_accvgpr_read_b32 v[vgprValuC+216], acc160 // copy acc to vreg[160]
v_accvgpr_read_b32 v[vgprValuC+217], acc164 // copy acc to vreg[161]
v_accvgpr_read_b32 v[vgprValuC+218], acc168 // copy acc to vreg[162]
v_accvgpr_read_b32 v[vgprValuC+219], acc172 // copy acc to vreg[163]
v_accvgpr_read_b32 v[vgprValuC+224], acc161 // copy acc to vreg[164]
v_accvgpr_read_b32 v[vgprValuC+225], acc165 // copy acc to vreg[165]
v_accvgpr_read_b32 v[vgprValuC+226], acc169 // copy acc to vreg[166]
v_accvgpr_read_b32 v[vgprValuC+227], acc173 // copy acc to vreg[167]
v_accvgpr_read_b32 v[vgprValuC+228], acc162 // copy acc to vreg[168]
v_accvgpr_read_b32 v[vgprValuC+229], acc166 // copy acc to vreg[169]
v_accvgpr_read_b32 v[vgprValuC+230], acc170 // copy acc to vreg[170]
v_accvgpr_read_b32 v[vgprValuC+231], acc174 // copy acc to vreg[171]
v_accvgpr_read_b32 v[vgprValuC+232], acc163 // copy acc to vreg[172]
v_accvgpr_read_b32 v[vgprValuC+233], acc167 // copy acc to vreg[173]
v_accvgpr_read_b32 v[vgprValuC+234], acc171 // copy acc to vreg[174]
v_accvgpr_read_b32 v[vgprValuC+235], acc175 // copy acc to vreg[175]
v_accvgpr_read_b32 v[vgprValuC+236], acc176 // copy acc to vreg[176]
v_accvgpr_read_b32 v[vgprValuC+237], acc180 // copy acc to vreg[177]
v_accvgpr_read_b32 v[vgprValuC+238], acc184 // copy acc to vreg[178]
v_accvgpr_read_b32 v[vgprValuC+239], acc188 // copy acc to vreg[179]
v_accvgpr_read_b32 v[vgprValuC+244], acc177 // copy acc to vreg[180]
v_accvgpr_read_b32 v[vgprValuC+245], acc181 // copy acc to vreg[181]
v_accvgpr_read_b32 v[vgprValuC+246], acc185 // copy acc to vreg[182]
v_accvgpr_read_b32 v[vgprValuC+247], acc189 // copy acc to vreg[183]
v_accvgpr_read_b32 v[vgprValuC+248], acc178 // copy acc to vreg[184]
v_accvgpr_read_b32 v[vgprValuC+249], acc182 // copy acc to vreg[185]
v_accvgpr_read_b32 v[vgprValuC+250], acc186 // copy acc to vreg[186]
v_accvgpr_read_b32 v[vgprValuC+251], acc190 // copy acc to vreg[187]
s_nop 1                                            // 2 wait states required before reading vgpr

/* rC *= alpha batchElements=[(0, 0, 0, 0), (0, 0, 1, 0), (0, 0, 2, 0), (0, 0, 3, 0), (1, 0, 0, 0), (1, 0, 1, 0), (1, 0, 2, 0), (1, 0, 3, 0), (2, 0, 0, 0), (2, 0, 1, 0), (2, 0, 2, 0), (2, 0, 3, 0), (3, 0, 0, 0), (3, 0, 1, 0), (3, 0, 2, 0), (3, 0, 3, 0), (4, 0, 0, 0), (4, 0, 1, 0), (4, 0, 2, 0), (4, 0, 3, 0), (5, 0, 0, 0), (5, 0, 1, 0), (5, 0, 2, 0), (5, 0, 3, 0), (6, 0, 0, 0), (6, 0, 1, 0), (6, 0, 2, 0), (6, 0, 3, 0), (7, 0, 0, 0), (7, 0, 1, 0), (7, 0, 2, 0), (7, 0, 3, 0), (8, 0, 0, 0), (8, 0, 1, 0), (8, 0, 2, 0), (8, 0, 3, 0), (9, 0, 0, 0), (9, 0, 1, 0), (9, 0, 2, 0), (9, 0, 3, 0), (10, 0, 0, 0), (10, 0, 1, 0), (10, 0, 2, 0), (10, 0, 3, 0), (11, 0, 0, 0), (11, 0, 1, 0), (11, 0, 2, 0)] */
v_mul_f32 v[vgprValuC+12], s[sgprAlpha], v[vgprValuC+12] // *= alpha
v_mul_f32 v[vgprValuC+13], s[sgprAlpha], v[vgprValuC+13] // *= alpha
	;; [unrolled: 1-line block ×188, first 2 shown]

/* apply mask, calc new C and issue writes */
v_mov_b32 v10, 0x207                               // flag for Nan and +/- inf
v_mov_b32 v8, 0x47600000                           // save 57344.0f as max for clipping
v_mov_b32 v9, 0xC7600000                           // save -57344`.0f as min for clipping
v_cmp_class_f32 s[54:55], v[vgprValuC+12], v10     // check NaN and +/-INF
v_med3_f32 v6, v[vgprValuC+12], v8, v9             // Clipping f32 value if exceeds the limit
v_cndmask_b32 v6, v6, v[vgprValuC+12], s[54:55]    // 
v_cmp_class_f32 s[54:55], v[vgprValuC+13], v10     // check NaN and +/-INF
v_med3_f32 v7, v[vgprValuC+13], v8, v9             // Clipping f32 value if exceeds the limit
v_cndmask_b32 v7, v7, v[vgprValuC+13], s[54:55]    // 
v_cvt_pk_bf8_f32  v12, v6, v7 op_sel:[0,0,0]       // convert two f32 accumulated values to fp8 and save it to lo_16[0:15]
v_cmp_class_f32 s[54:55], v[vgprValuC+14], v10     // check NaN and +/-INF
v_med3_f32 v6, v[vgprValuC+14], v8, v9             // Clipping f32 value if exceeds the limit
v_cndmask_b32 v6, v6, v[vgprValuC+14], s[54:55]    // 
v_cmp_class_f32 s[54:55], v[vgprValuC+15], v10     // check NaN and +/-INF
v_med3_f32 v7, v[vgprValuC+15], v8, v9             // Clipping f32 value if exceeds the limit
v_cndmask_b32 v7, v7, v[vgprValuC+15], s[54:55]    // 
v_cvt_pk_bf8_f32  v12, v6, v7 op_sel:[0,0,1]       // convert two f32 accumulated values to fp8 and save it to hi_16[16:31]
_buffer_store_b32 v12, v11, s[sgprSrdD:sgprSrdD+3], 0, offen, offset:0,  sc0 sc1 // store D
v_cmp_class_f32 s[54:55], v[vgprValuC+20], v10     // check NaN and +/-INF
v_med3_f32 v6, v[vgprValuC+20], v8, v9             // Clipping f32 value if exceeds the limit
v_cndmask_b32 v6, v6, v[vgprValuC+20], s[54:55]    // 
v_cmp_class_f32 s[54:55], v[vgprValuC+21], v10     // check NaN and +/-INF
v_med3_f32 v7, v[vgprValuC+21], v8, v9             // Clipping f32 value if exceeds the limit
v_cndmask_b32 v7, v7, v[vgprValuC+21], s[54:55]    // 
v_cvt_pk_bf8_f32  v20, v6, v7 op_sel:[0,0,0]       // convert two f32 accumulated values to fp8 and save it to lo_16[0:15]
v_cmp_class_f32 s[54:55], v[vgprValuC+22], v10     // check NaN and +/-INF
v_med3_f32 v6, v[vgprValuC+22], v8, v9             // Clipping f32 value if exceeds the limit
v_cndmask_b32 v6, v6, v[vgprValuC+22], s[54:55]    // 
v_cmp_class_f32 s[54:55], v[vgprValuC+23], v10     // check NaN and +/-INF
v_med3_f32 v7, v[vgprValuC+23], v8, v9             // Clipping f32 value if exceeds the limit
v_cndmask_b32 v7, v7, v[vgprValuC+23], s[54:55]    // 
v_cvt_pk_bf8_f32  v20, v6, v7 op_sel:[0,0,1]       // convert two f32 accumulated values to fp8 and save it to hi_16[16:31]
_buffer_store_b32 v20, v16, s[sgprSrdD:sgprSrdD+3], 0, offen, offset:0,  sc0 sc1 // store D
	;; [unrolled: 15-line block ×17, first 2 shown]
v_cmp_class_f32 s[54:55], v[vgprValuC+100], v10    // check NaN and +/-INF
v_med3_f32 v6, v[vgprValuC+100], v8, v9            // Clipping f32 value if exceeds the limit
v_cndmask_b32 v6, v6, v[vgprValuC+100], s[54:55]   // 
v_cmp_class_f32 s[54:55], v[vgprValuC+101], v10    // check NaN and +/-INF
v_med3_f32 v7, v[vgprValuC+101], v8, v9            // Clipping f32 value if exceeds the limit
v_cndmask_b32 v7, v7, v[vgprValuC+101], s[54:55]   // 
v_cvt_pk_bf8_f32  v100, v6, v7 op_sel:[0,0,0]      // convert two f32 accumulated values to fp8 and save it to lo_16[0:15]
v_cmp_class_f32 s[54:55], v[vgprValuC+102], v10    // check NaN and +/-INF
v_med3_f32 v6, v[vgprValuC+102], v8, v9            // Clipping f32 value if exceeds the limit
v_cndmask_b32 v6, v6, v[vgprValuC+102], s[54:55]   // 
v_cmp_class_f32 s[54:55], v[vgprValuC+103], v10    // check NaN and +/-INF
v_med3_f32 v7, v[vgprValuC+103], v8, v9            // Clipping f32 value if exceeds the limit
v_cndmask_b32 v7, v7, v[vgprValuC+103], s[54:55]   // 
v_cvt_pk_bf8_f32  v100, v6, v7 op_sel:[0,0,1]      // convert two f32 accumulated values to fp8 and save it to hi_16[16:31]
_buffer_store_b32 v100, v96, s[sgprSrdD:sgprSrdD+3], 0, offen, offset:0,  sc0 sc1 // store D
v_cmp_class_f32 s[54:55], v[vgprValuC+104], v10    // check NaN and +/-INF
v_med3_f32 v6, v[vgprValuC+104], v8, v9            // Clipping f32 value if exceeds the limit
v_cndmask_b32 v6, v6, v[vgprValuC+104], s[54:55]   // 
v_cmp_class_f32 s[54:55], v[vgprValuC+105], v10    // check NaN and +/-INF
v_med3_f32 v7, v[vgprValuC+105], v8, v9            // Clipping f32 value if exceeds the limit
v_cndmask_b32 v7, v7, v[vgprValuC+105], s[54:55]   // 
v_cvt_pk_bf8_f32  v104, v6, v7 op_sel:[0,0,0]      // convert two f32 accumulated values to fp8 and save it to lo_16[0:15]
v_cmp_class_f32 s[54:55], v[vgprValuC+106], v10    // check NaN and +/-INF
v_med3_f32 v6, v[vgprValuC+106], v8, v9            // Clipping f32 value if exceeds the limit
v_cndmask_b32 v6, v6, v[vgprValuC+106], s[54:55]   // 
v_cmp_class_f32 s[54:55], v[vgprValuC+107], v10    // check NaN and +/-INF
v_med3_f32 v7, v[vgprValuC+107], v8, v9            // Clipping f32 value if exceeds the limit
v_cndmask_b32 v7, v7, v[vgprValuC+107], s[54:55]   // 
v_cvt_pk_bf8_f32  v104, v6, v7 op_sel:[0,0,1]      // convert two f32 accumulated values to fp8 and save it to hi_16[16:31]
_buffer_store_b32 v104, v97, s[sgprSrdD:sgprSrdD+3], 0, offen, offset:0,  sc0 sc1 // store D
	;; [unrolled: 15-line block ×30, first 2 shown]
s_nop 0                                            // 1 wait state required when next inst writes vgprs held by previous dwordx4 store inst
/* optSingleColVgpr=0 optSharedColVgpr=0 optSGPRUsage=BufferLoad_Edge_Mask optSrdIncForRow=0 */
s_sleep 3 // optimization: sync and wait
s_barrier

/******************************************/
/* Global Write Alpha Edge Batch #1 (d1,d0,vc1,vc0) = */
/*    (11,0,3,0:vw4); (12,0,0,0:vw4); (12,0,1,0:vw4); (12,0,2,0:vw4); (12,0,3,0:vw4); (13,0,0,0:vw4); (13,0,1,0:vw4); (13,0,2,0:vw4); (13,0,3,0:vw4); (14,0,0,0:vw4); (14,0,1,0:vw4); (14,0,2,0:vw4); (14,0,3,0:vw4); (15,0,0,0:vw4); (15,0,1,0:vw4); (15,0,2,0:vw4); (15,0,3,0:vw4) */
/******************************************/

/* calc coords, apply mask, and issue loads (if necessary) */
/* (d1,vc1,d0,vc0)=(11,3,0,0) */
_v_add_co_u32 v1, vcc, v1, 1                       // coord1.1: coord1Vgpr += d1*sg1*VW + vc1

/* Fix for UseInitialStridesCD, emitAddressSetupCode */
_v_add_u32 v2, v2, s[sgprStrideC1J]                // ROWINC- Move cinRowPtr to next row
_v_add_u32 v3, v3, s[sgprStrideD1J]                // Move coutRowPtr to next row
v_cmp_lt_u32 s[54:55], v0, s[sgprSizeI]            // coord0 < size0
v_cmp_lt_u32 s[58:59], v1, s[sgprSizeJ]            // coord1 < size1
s_and_b64 s[58:59], s[54:55], s[58:59]             // in0 && in1
_v_add_lshl_u32 v11, v3, v0, 0x0                   // scaleToBpe: accumulate d0 lower and *= bpe into Cin addr
v_cndmask_b32 v11, -1, v11, s[58:59]               // LDD clip if OOB. offset
/* (d1,vc1,d0,vc0)=(12,0,0,0) */
_v_add_co_u32 v1, vcc, v1, 13                      // coord1.1: coord1Vgpr += d1*sg1*VW + vc1

/* Fix for UseInitialStridesCD, emitAddressSetupCode */
s_mul_i32 s54, s[sgprStrideC1J], 13                // scale stride
_v_add_u32 v2, v2, s54                             // ROWINC- Move cinRowPtr to next row
s_mul_i32 s54, s[sgprStrideD1J], 13                // scale stride
_v_add_u32 v3, v3, s54                             // Move coutRowPtr to next row
v_cmp_lt_u32 s[54:55], v0, s[sgprSizeI]            // coord0 < size0
v_cmp_lt_u32 s[58:59], v1, s[sgprSizeJ]            // coord1 < size1
s_and_b64 s[58:59], s[54:55], s[58:59]             // in0 && in1
_v_add_lshl_u32 v16, v3, v0, 0x0                   // scaleToBpe: accumulate d0 lower and *= bpe into Cin addr
v_cndmask_b32 v16, -1, v16, s[58:59]               // LDD clip if OOB. offset
/* (d1,vc1,d0,vc0)=(12,1,0,0) */
_v_add_co_u32 v1, vcc, v1, 1                       // coord1.1: coord1Vgpr += d1*sg1*VW + vc1

/* Fix for UseInitialStridesCD, emitAddressSetupCode */
_v_add_u32 v2, v2, s[sgprStrideC1J]                // ROWINC- Move cinRowPtr to next row
_v_add_u32 v3, v3, s[sgprStrideD1J]                // Move coutRowPtr to next row
v_cmp_lt_u32 s[54:55], v0, s[sgprSizeI]            // coord0 < size0
v_cmp_lt_u32 s[58:59], v1, s[sgprSizeJ]            // coord1 < size1
s_and_b64 s[58:59], s[54:55], s[58:59]             // in0 && in1
_v_add_lshl_u32 v17, v3, v0, 0x0                   // scaleToBpe: accumulate d0 lower and *= bpe into Cin addr
v_cndmask_b32 v17, -1, v17, s[58:59]               // LDD clip if OOB. offset
/* (d1,vc1,d0,vc0)=(12,2,0,0) */
_v_add_co_u32 v1, vcc, v1, 1                       // coord1.1: coord1Vgpr += d1*sg1*VW + vc1

/* Fix for UseInitialStridesCD, emitAddressSetupCode */
_v_add_u32 v2, v2, s[sgprStrideC1J]                // ROWINC- Move cinRowPtr to next row
_v_add_u32 v3, v3, s[sgprStrideD1J]                // Move coutRowPtr to next row
v_cmp_lt_u32 s[54:55], v0, s[sgprSizeI]            // coord0 < size0
v_cmp_lt_u32 s[58:59], v1, s[sgprSizeJ]            // coord1 < size1
s_and_b64 s[58:59], s[54:55], s[58:59]             // in0 && in1
_v_add_lshl_u32 v18, v3, v0, 0x0                   // scaleToBpe: accumulate d0 lower and *= bpe into Cin addr
v_cndmask_b32 v18, -1, v18, s[58:59]               // LDD clip if OOB. offset
/* (d1,vc1,d0,vc0)=(12,3,0,0) */
_v_add_co_u32 v1, vcc, v1, 1                       // coord1.1: coord1Vgpr += d1*sg1*VW + vc1

/* Fix for UseInitialStridesCD, emitAddressSetupCode */
_v_add_u32 v2, v2, s[sgprStrideC1J]                // ROWINC- Move cinRowPtr to next row
_v_add_u32 v3, v3, s[sgprStrideD1J]                // Move coutRowPtr to next row
v_cmp_lt_u32 s[54:55], v0, s[sgprSizeI]            // coord0 < size0
v_cmp_lt_u32 s[58:59], v1, s[sgprSizeJ]            // coord1 < size1
s_and_b64 s[58:59], s[54:55], s[58:59]             // in0 && in1
_v_add_lshl_u32 v19, v3, v0, 0x0                   // scaleToBpe: accumulate d0 lower and *= bpe into Cin addr
v_cndmask_b32 v19, -1, v19, s[58:59]               // LDD clip if OOB. offset
/* (d1,vc1,d0,vc0)=(13,0,0,0) */
_v_add_co_u32 v1, vcc, v1, 13                      // coord1.1: coord1Vgpr += d1*sg1*VW + vc1

/* Fix for UseInitialStridesCD, emitAddressSetupCode */
s_mul_i32 s54, s[sgprStrideC1J], 13                // scale stride
_v_add_u32 v2, v2, s54                             // ROWINC- Move cinRowPtr to next row
s_mul_i32 s54, s[sgprStrideD1J], 13                // scale stride
_v_add_u32 v3, v3, s54                             // Move coutRowPtr to next row
v_cmp_lt_u32 s[54:55], v0, s[sgprSizeI]            // coord0 < size0
v_cmp_lt_u32 s[58:59], v1, s[sgprSizeJ]            // coord1 < size1
s_and_b64 s[58:59], s[54:55], s[58:59]             // in0 && in1
_v_add_lshl_u32 v36, v3, v0, 0x0                   // scaleToBpe: accumulate d0 lower and *= bpe into Cin addr
v_cndmask_b32 v36, -1, v36, s[58:59]               // LDD clip if OOB. offset
/* (d1,vc1,d0,vc0)=(13,1,0,0) */
_v_add_co_u32 v1, vcc, v1, 1                       // coord1.1: coord1Vgpr += d1*sg1*VW + vc1

/* Fix for UseInitialStridesCD, emitAddressSetupCode */
_v_add_u32 v2, v2, s[sgprStrideC1J]                // ROWINC- Move cinRowPtr to next row
_v_add_u32 v3, v3, s[sgprStrideD1J]                // Move coutRowPtr to next row
v_cmp_lt_u32 s[54:55], v0, s[sgprSizeI]            // coord0 < size0
v_cmp_lt_u32 s[58:59], v1, s[sgprSizeJ]            // coord1 < size1
s_and_b64 s[58:59], s[54:55], s[58:59]             // in0 && in1
_v_add_lshl_u32 v37, v3, v0, 0x0                   // scaleToBpe: accumulate d0 lower and *= bpe into Cin addr
v_cndmask_b32 v37, -1, v37, s[58:59]               // LDD clip if OOB. offset
/* (d1,vc1,d0,vc0)=(13,2,0,0) */
_v_add_co_u32 v1, vcc, v1, 1                       // coord1.1: coord1Vgpr += d1*sg1*VW + vc1

/* Fix for UseInitialStridesCD, emitAddressSetupCode */
_v_add_u32 v2, v2, s[sgprStrideC1J]                // ROWINC- Move cinRowPtr to next row
_v_add_u32 v3, v3, s[sgprStrideD1J]                // Move coutRowPtr to next row
v_cmp_lt_u32 s[54:55], v0, s[sgprSizeI]            // coord0 < size0
v_cmp_lt_u32 s[58:59], v1, s[sgprSizeJ]            // coord1 < size1
s_and_b64 s[58:59], s[54:55], s[58:59]             // in0 && in1
_v_add_lshl_u32 v38, v3, v0, 0x0                   // scaleToBpe: accumulate d0 lower and *= bpe into Cin addr
v_cndmask_b32 v38, -1, v38, s[58:59]               // LDD clip if OOB. offset
	;; [unrolled: 46-line block ×4, first 2 shown]
/* (d1,vc1,d0,vc0)=(15,3,0,0) */
_v_add_co_u32 v1, vcc, v1, 1                       // coord1.1: coord1Vgpr += d1*sg1*VW + vc1

/* Fix for UseInitialStridesCD, emitAddressSetupCode */
_v_add_u32 v2, v2, s[sgprStrideC1J]                // ROWINC- Move cinRowPtr to next row
_v_add_u32 v3, v3, s[sgprStrideD1J]                // Move coutRowPtr to next row
v_cmp_lt_u32 s[54:55], v0, s[sgprSizeI]            // coord0 < size0
v_cmp_lt_u32 s[58:59], v1, s[sgprSizeJ]            // coord1 < size1
s_and_b64 s[58:59], s[54:55], s[58:59]             // in0 && in1
_v_add_lshl_u32 v79, v3, v0, 0x0                   // scaleToBpe: accumulate d0 lower and *= bpe into Cin addr
v_cndmask_b32 v79, -1, v79, s[58:59]               // LDD clip if OOB. offset
v_accvgpr_read_b32 v[vgprValuC+12], acc179 // copy acc to vreg[188]
v_accvgpr_read_b32 v[vgprValuC+13], acc183 // copy acc to vreg[189]
v_accvgpr_read_b32 v[vgprValuC+14], acc187 // copy acc to vreg[190]
v_accvgpr_read_b32 v[vgprValuC+15], acc191 // copy acc to vreg[191]
v_accvgpr_read_b32 v[vgprValuC+20], acc192 // copy acc to vreg[192]
v_accvgpr_read_b32 v[vgprValuC+21], acc196 // copy acc to vreg[193]
v_accvgpr_read_b32 v[vgprValuC+22], acc200 // copy acc to vreg[194]
v_accvgpr_read_b32 v[vgprValuC+23], acc204 // copy acc to vreg[195]
v_accvgpr_read_b32 v[vgprValuC+24], acc193 // copy acc to vreg[196]
v_accvgpr_read_b32 v[vgprValuC+25], acc197 // copy acc to vreg[197]
v_accvgpr_read_b32 v[vgprValuC+26], acc201 // copy acc to vreg[198]
v_accvgpr_read_b32 v[vgprValuC+27], acc205 // copy acc to vreg[199]
v_accvgpr_read_b32 v[vgprValuC+28], acc194 // copy acc to vreg[200]
v_accvgpr_read_b32 v[vgprValuC+29], acc198 // copy acc to vreg[201]
v_accvgpr_read_b32 v[vgprValuC+30], acc202 // copy acc to vreg[202]
v_accvgpr_read_b32 v[vgprValuC+31], acc206 // copy acc to vreg[203]
v_accvgpr_read_b32 v[vgprValuC+32], acc195 // copy acc to vreg[204]
v_accvgpr_read_b32 v[vgprValuC+33], acc199 // copy acc to vreg[205]
v_accvgpr_read_b32 v[vgprValuC+34], acc203 // copy acc to vreg[206]
v_accvgpr_read_b32 v[vgprValuC+35], acc207 // copy acc to vreg[207]
v_accvgpr_read_b32 v[vgprValuC+40], acc208 // copy acc to vreg[208]
v_accvgpr_read_b32 v[vgprValuC+41], acc212 // copy acc to vreg[209]
v_accvgpr_read_b32 v[vgprValuC+42], acc216 // copy acc to vreg[210]
v_accvgpr_read_b32 v[vgprValuC+43], acc220 // copy acc to vreg[211]
v_accvgpr_read_b32 v[vgprValuC+44], acc209 // copy acc to vreg[212]
v_accvgpr_read_b32 v[vgprValuC+45], acc213 // copy acc to vreg[213]
v_accvgpr_read_b32 v[vgprValuC+46], acc217 // copy acc to vreg[214]
v_accvgpr_read_b32 v[vgprValuC+47], acc221 // copy acc to vreg[215]
v_accvgpr_read_b32 v[vgprValuC+48], acc210 // copy acc to vreg[216]
v_accvgpr_read_b32 v[vgprValuC+49], acc214 // copy acc to vreg[217]
v_accvgpr_read_b32 v[vgprValuC+50], acc218 // copy acc to vreg[218]
v_accvgpr_read_b32 v[vgprValuC+51], acc222 // copy acc to vreg[219]
v_accvgpr_read_b32 v[vgprValuC+52], acc211 // copy acc to vreg[220]
v_accvgpr_read_b32 v[vgprValuC+53], acc215 // copy acc to vreg[221]
v_accvgpr_read_b32 v[vgprValuC+54], acc219 // copy acc to vreg[222]
v_accvgpr_read_b32 v[vgprValuC+55], acc223 // copy acc to vreg[223]
v_accvgpr_read_b32 v[vgprValuC+60], acc224 // copy acc to vreg[224]
v_accvgpr_read_b32 v[vgprValuC+61], acc228 // copy acc to vreg[225]
v_accvgpr_read_b32 v[vgprValuC+62], acc232 // copy acc to vreg[226]
v_accvgpr_read_b32 v[vgprValuC+63], acc236 // copy acc to vreg[227]
v_accvgpr_read_b32 v[vgprValuC+64], acc225 // copy acc to vreg[228]
v_accvgpr_read_b32 v[vgprValuC+65], acc229 // copy acc to vreg[229]
v_accvgpr_read_b32 v[vgprValuC+66], acc233 // copy acc to vreg[230]
v_accvgpr_read_b32 v[vgprValuC+67], acc237 // copy acc to vreg[231]
v_accvgpr_read_b32 v[vgprValuC+68], acc226 // copy acc to vreg[232]
v_accvgpr_read_b32 v[vgprValuC+69], acc230 // copy acc to vreg[233]
v_accvgpr_read_b32 v[vgprValuC+70], acc234 // copy acc to vreg[234]
v_accvgpr_read_b32 v[vgprValuC+71], acc238 // copy acc to vreg[235]
v_accvgpr_read_b32 v[vgprValuC+72], acc227 // copy acc to vreg[236]
v_accvgpr_read_b32 v[vgprValuC+73], acc231 // copy acc to vreg[237]
v_accvgpr_read_b32 v[vgprValuC+74], acc235 // copy acc to vreg[238]
v_accvgpr_read_b32 v[vgprValuC+75], acc239 // copy acc to vreg[239]
v_accvgpr_read_b32 v[vgprValuC+80], acc240 // copy acc to vreg[240]
v_accvgpr_read_b32 v[vgprValuC+81], acc244 // copy acc to vreg[241]
v_accvgpr_read_b32 v[vgprValuC+82], acc248 // copy acc to vreg[242]
v_accvgpr_read_b32 v[vgprValuC+83], acc252 // copy acc to vreg[243]
v_accvgpr_read_b32 v[vgprValuC+84], acc241 // copy acc to vreg[244]
v_accvgpr_read_b32 v[vgprValuC+85], acc245 // copy acc to vreg[245]
v_accvgpr_read_b32 v[vgprValuC+86], acc249 // copy acc to vreg[246]
v_accvgpr_read_b32 v[vgprValuC+87], acc253 // copy acc to vreg[247]
v_accvgpr_read_b32 v[vgprValuC+88], acc242 // copy acc to vreg[248]
v_accvgpr_read_b32 v[vgprValuC+89], acc246 // copy acc to vreg[249]
v_accvgpr_read_b32 v[vgprValuC+90], acc250 // copy acc to vreg[250]
v_accvgpr_read_b32 v[vgprValuC+91], acc254 // copy acc to vreg[251]
v_accvgpr_read_b32 v[vgprValuC+92], acc243 // copy acc to vreg[252]
v_accvgpr_read_b32 v[vgprValuC+93], acc247 // copy acc to vreg[253]
v_accvgpr_read_b32 v[vgprValuC+94], acc251 // copy acc to vreg[254]
v_accvgpr_read_b32 v[vgprValuC+95], acc255 // copy acc to vreg[255]
s_nop 1                                            // 2 wait states required before reading vgpr

/* rC *= alpha batchElements=[(11, 0, 3, 0), (12, 0, 0, 0), (12, 0, 1, 0), (12, 0, 2, 0), (12, 0, 3, 0), (13, 0, 0, 0), (13, 0, 1, 0), (13, 0, 2, 0), (13, 0, 3, 0), (14, 0, 0, 0), (14, 0, 1, 0), (14, 0, 2, 0), (14, 0, 3, 0), (15, 0, 0, 0), (15, 0, 1, 0), (15, 0, 2, 0), (15, 0, 3, 0)] */
v_mul_f32 v[vgprValuC+12], s[sgprAlpha], v[vgprValuC+12] // *= alpha
v_mul_f32 v[vgprValuC+13], s[sgprAlpha], v[vgprValuC+13] // *= alpha
	;; [unrolled: 1-line block ×68, first 2 shown]

/* apply mask, calc new C and issue writes */
v_mov_b32 v10, 0x207                               // flag for Nan and +/- inf
v_mov_b32 v8, 0x47600000                           // save 57344.0f as max for clipping
v_mov_b32 v9, 0xC7600000                           // save -57344`.0f as min for clipping
v_cmp_class_f32 s[54:55], v[vgprValuC+12], v10     // check NaN and +/-INF
v_med3_f32 v6, v[vgprValuC+12], v8, v9             // Clipping f32 value if exceeds the limit
v_cndmask_b32 v6, v6, v[vgprValuC+12], s[54:55]    // 
v_cmp_class_f32 s[54:55], v[vgprValuC+13], v10     // check NaN and +/-INF
v_med3_f32 v7, v[vgprValuC+13], v8, v9             // Clipping f32 value if exceeds the limit
v_cndmask_b32 v7, v7, v[vgprValuC+13], s[54:55]    // 
v_cvt_pk_bf8_f32  v12, v6, v7 op_sel:[0,0,0]       // convert two f32 accumulated values to fp8 and save it to lo_16[0:15]
v_cmp_class_f32 s[54:55], v[vgprValuC+14], v10     // check NaN and +/-INF
v_med3_f32 v6, v[vgprValuC+14], v8, v9             // Clipping f32 value if exceeds the limit
v_cndmask_b32 v6, v6, v[vgprValuC+14], s[54:55]    // 
v_cmp_class_f32 s[54:55], v[vgprValuC+15], v10     // check NaN and +/-INF
v_med3_f32 v7, v[vgprValuC+15], v8, v9             // Clipping f32 value if exceeds the limit
v_cndmask_b32 v7, v7, v[vgprValuC+15], s[54:55]    // 
v_cvt_pk_bf8_f32  v12, v6, v7 op_sel:[0,0,1]       // convert two f32 accumulated values to fp8 and save it to hi_16[16:31]
_buffer_store_b32 v12, v11, s[sgprSrdD:sgprSrdD+3], 0, offen, offset:0,  sc0 sc1 // store D
v_cmp_class_f32 s[54:55], v[vgprValuC+20], v10     // check NaN and +/-INF
v_med3_f32 v6, v[vgprValuC+20], v8, v9             // Clipping f32 value if exceeds the limit
v_cndmask_b32 v6, v6, v[vgprValuC+20], s[54:55]    // 
v_cmp_class_f32 s[54:55], v[vgprValuC+21], v10     // check NaN and +/-INF
v_med3_f32 v7, v[vgprValuC+21], v8, v9             // Clipping f32 value if exceeds the limit
v_cndmask_b32 v7, v7, v[vgprValuC+21], s[54:55]    // 
v_cvt_pk_bf8_f32  v20, v6, v7 op_sel:[0,0,0]       // convert two f32 accumulated values to fp8 and save it to lo_16[0:15]
v_cmp_class_f32 s[54:55], v[vgprValuC+22], v10     // check NaN and +/-INF
v_med3_f32 v6, v[vgprValuC+22], v8, v9             // Clipping f32 value if exceeds the limit
v_cndmask_b32 v6, v6, v[vgprValuC+22], s[54:55]    // 
v_cmp_class_f32 s[54:55], v[vgprValuC+23], v10     // check NaN and +/-INF
v_med3_f32 v7, v[vgprValuC+23], v8, v9             // Clipping f32 value if exceeds the limit
v_cndmask_b32 v7, v7, v[vgprValuC+23], s[54:55]    // 
v_cvt_pk_bf8_f32  v20, v6, v7 op_sel:[0,0,1]       // convert two f32 accumulated values to fp8 and save it to hi_16[16:31]
_buffer_store_b32 v20, v16, s[sgprSrdD:sgprSrdD+3], 0, offen, offset:0,  sc0 sc1 // store D
	;; [unrolled: 15-line block ×17, first 2 shown]
s_nop 0                                            // 1 wait state required when next inst writes vgprs held by previous dwordx4 store inst
s_branch label_GW_End_42                           // jump to end
GW_Beta_43:
s_and_b32 s54, 255, s[sgprSizeI]                   // s54 = s[sgprSizeI] % 256
s_add_u32 s55, -0x1, s[sgprNumWorkGroups0]         // 
s_cmp_ge_u32 s[sgprWorkGroup0], s55                // wg0 >= nwg0-1 ?
s_cselect_b32 s54, s54, 0                          // set rMT0
s_cmpk_gt_u32 s54, 0x0                             // rMT0 > 0
s_cbranch_scc1 GW_B1_E1_41                         // jump if edges required
s_and_b32 s54, 255, s[sgprSizeJ]                   // s54 = s[sgprSizeJ] % 256
s_add_u32 s55, -0x1, s[sgprNumWorkGroups1]         // 
s_cmp_ge_u32 s[sgprWorkGroup1], s55                // wg1 >= nwg1-1
s_cselect_b32 s54, s54, 0                          // set rMT1
s_cmpk_gt_u32 s54, 0x0                             // rMT1 > 0
s_cbranch_scc1 GW_B1_E1_41                         // jump if edges required
GW_B1_E0_38:

/* edge=0, allocate 2 sgpr. perBatchTmpS=2 perBatchMaskS=0 perElementMaskS=0 elementsPerBatch=46 */
/* optSingleColVgpr=1 optSharedColVgpr=0 optSGPRUsage=BufferLoad_Mask optSrdIncForRow=1 */
s_sleep 3 // optimization: sync and wait
s_barrier

/******************************************/
/* Global Write Alpha Beta Batch #0 (d1,d0,vc1,vc0) = */
/*    (0,0,0,0:vw4); (0,0,1,0:vw4); (0,0,2,0:vw4); (0,0,3,0:vw4); (1,0,0,0:vw4); (1,0,1,0:vw4); (1,0,2,0:vw4); (1,0,3,0:vw4); (2,0,0,0:vw4); (2,0,1,0:vw4); (2,0,2,0:vw4); (2,0,3,0:vw4); (3,0,0,0:vw4); (3,0,1,0:vw4); (3,0,2,0:vw4); (3,0,3,0:vw4); (4,0,0,0:vw4); (4,0,1,0:vw4); (4,0,2,0:vw4); (4,0,3,0:vw4); (5,0,0,0:vw4); (5,0,1,0:vw4); (5,0,2,0:vw4); (5,0,3,0:vw4); (6,0,0,0:vw4); (6,0,1,0:vw4); (6,0,2,0:vw4); (6,0,3,0:vw4); (7,0,0,0:vw4); (7,0,1,0:vw4); (7,0,2,0:vw4); (7,0,3,0:vw4); (8,0,0,0:vw4); (8,0,1,0:vw4); (8,0,2,0:vw4); (8,0,3,0:vw4); (9,0,0,0:vw4); (9,0,1,0:vw4); (9,0,2,0:vw4); (9,0,3,0:vw4); (10,0,0,0:vw4); (10,0,1,0:vw4); (10,0,2,0:vw4); (10,0,3,0:vw4); (11,0,0,0:vw4); (11,0,1,0:vw4) */
/******************************************/

/* calc coords, apply mask, and issue loads (if necessary) */
/* (d1,vc1,d0,vc0)=(0,0,0,0) */
_v_add_lshl_u32 v12, v2, v0, 0x0                   // optSingleColVgpr scaleToBpe: sharedAddrVgpr <- cinRowPtr + coord0, scaled by BPE. BSHERE:coord0=0, coord0Vgpr=0
_buffer_load_b32 v13, v12, s[sgprSrdC:sgprSrdC+3], 0, offen offset:0,  sc0 sc1 // load C for beta calc
/* (d1,vc1,d0,vc0)=(0,1,0,0) */
s_lshl_b32  s54, s[sgprStrideC1J], 0               // incToNextRow: Scale by BPE
s_add_u32  s[sgprSrdC+0], s[sgprSrdC+0], s54       // incToNextRow: gra SRD += inc(lower)
s_addc_u32  s[sgprSrdC+1], s[sgprSrdC+1], 0        // incToNextRow: gra SRD += inc(upper)
_buffer_load_b32 v14, v12, s[sgprSrdC:sgprSrdC+3], 0, offen offset:0,  sc0 sc1 // load C for beta calc
/* (d1,vc1,d0,vc0)=(0,2,0,0) */
s_lshl_b32  s54, s[sgprStrideC1J], 0               // incToNextRow: Scale by BPE
s_add_u32  s[sgprSrdC+0], s[sgprSrdC+0], s54       // incToNextRow: gra SRD += inc(lower)
s_addc_u32  s[sgprSrdC+1], s[sgprSrdC+1], 0        // incToNextRow: gra SRD += inc(upper)
_buffer_load_b32 v15, v12, s[sgprSrdC:sgprSrdC+3], 0, offen offset:0,  sc0 sc1 // load C for beta calc
/* (d1,vc1,d0,vc0)=(0,3,0,0) */
s_lshl_b32  s54, s[sgprStrideC1J], 0               // incToNextRow: Scale by BPE
s_add_u32  s[sgprSrdC+0], s[sgprSrdC+0], s54       // incToNextRow: gra SRD += inc(lower)
s_addc_u32  s[sgprSrdC+1], s[sgprSrdC+1], 0        // incToNextRow: gra SRD += inc(upper)
_buffer_load_b32 v28, v12, s[sgprSrdC:sgprSrdC+3], 0, offen offset:0,  sc0 sc1 // load C for beta calc
/* (d1,vc1,d0,vc0)=(1,0,0,0) */
s_mul_i32 s54, s[sgprStrideC1J], 13                // scale StrideC *= numRows(13) * bpe
s_add_u32  s[sgprSrdC+0], s[sgprSrdC+0], s54       // incToNextRow: gra SRD += inc(lower)
s_addc_u32  s[sgprSrdC+1], s[sgprSrdC+1], 0        // incToNextRow: gra SRD += inc(upper)
_buffer_load_b32 v29, v12, s[sgprSrdC:sgprSrdC+3], 0, offen offset:0,  sc0 sc1 // load C for beta calc
/* (d1,vc1,d0,vc0)=(1,1,0,0) */
s_lshl_b32  s54, s[sgprStrideC1J], 0               // incToNextRow: Scale by BPE
s_add_u32  s[sgprSrdC+0], s[sgprSrdC+0], s54       // incToNextRow: gra SRD += inc(lower)
s_addc_u32  s[sgprSrdC+1], s[sgprSrdC+1], 0        // incToNextRow: gra SRD += inc(upper)
_buffer_load_b32 v30, v12, s[sgprSrdC:sgprSrdC+3], 0, offen offset:0,  sc0 sc1 // load C for beta calc
/* (d1,vc1,d0,vc0)=(1,2,0,0) */
s_lshl_b32  s54, s[sgprStrideC1J], 0               // incToNextRow: Scale by BPE
s_add_u32  s[sgprSrdC+0], s[sgprSrdC+0], s54       // incToNextRow: gra SRD += inc(lower)
s_addc_u32  s[sgprSrdC+1], s[sgprSrdC+1], 0        // incToNextRow: gra SRD += inc(upper)
_buffer_load_b32 v31, v12, s[sgprSrdC:sgprSrdC+3], 0, offen offset:0,  sc0 sc1 // load C for beta calc
/* (d1,vc1,d0,vc0)=(1,3,0,0) */
s_lshl_b32  s54, s[sgprStrideC1J], 0               // incToNextRow: Scale by BPE
s_add_u32  s[sgprSrdC+0], s[sgprSrdC+0], s54       // incToNextRow: gra SRD += inc(lower)
s_addc_u32  s[sgprSrdC+1], s[sgprSrdC+1], 0        // incToNextRow: gra SRD += inc(upper)
_buffer_load_b32 v48, v12, s[sgprSrdC:sgprSrdC+3], 0, offen offset:0,  sc0 sc1 // load C for beta calc
/* (d1,vc1,d0,vc0)=(2,0,0,0) */
s_mul_i32 s54, s[sgprStrideC1J], 13                // scale StrideC *= numRows(13) * bpe
s_add_u32  s[sgprSrdC+0], s[sgprSrdC+0], s54       // incToNextRow: gra SRD += inc(lower)
s_addc_u32  s[sgprSrdC+1], s[sgprSrdC+1], 0        // incToNextRow: gra SRD += inc(upper)
	;; [unrolled: 20-line block ×11, first 2 shown]
_buffer_load_b32 v233, v12, s[sgprSrdC:sgprSrdC+3], 0, offen offset:0,  sc0 sc1 // load C for beta calc
/* (d1,vc1,d0,vc0)=(11,1,0,0) */
s_lshl_b32  s54, s[sgprStrideC1J], 0               // incToNextRow: Scale by BPE
s_add_u32  s[sgprSrdC+0], s[sgprSrdC+0], s54       // incToNextRow: gra SRD += inc(lower)
s_addc_u32  s[sgprSrdC+1], s[sgprSrdC+1], 0        // incToNextRow: gra SRD += inc(upper)
_buffer_load_b32 v234, v12, s[sgprSrdC:sgprSrdC+3], 0, offen offset:0,  sc0 sc1 // load C for beta calc
_v_add_lshl_u32 v11, v3, v0, 0x0                   // optSingleColVgpr scaleToBpe: sharedAddrVgpr <- cinRowPtr + coord0, scaled by BPE. BSHERE:coord0=0, coord0Vgpr=0
s_sleep 3 // optimization: sync and wait
s_barrier
v_accvgpr_read_b32 v[vgprValuC+16], acc0 // copy acc to vreg[0]
v_accvgpr_read_b32 v[vgprValuC+17], acc4 // copy acc to vreg[1]
v_accvgpr_read_b32 v[vgprValuC+18], acc8 // copy acc to vreg[2]
v_accvgpr_read_b32 v[vgprValuC+19], acc12 // copy acc to vreg[3]
v_accvgpr_read_b32 v[vgprValuC+20], acc1 // copy acc to vreg[4]
v_accvgpr_read_b32 v[vgprValuC+21], acc5 // copy acc to vreg[5]
v_accvgpr_read_b32 v[vgprValuC+22], acc9 // copy acc to vreg[6]
v_accvgpr_read_b32 v[vgprValuC+23], acc13 // copy acc to vreg[7]
v_accvgpr_read_b32 v[vgprValuC+24], acc2 // copy acc to vreg[8]
v_accvgpr_read_b32 v[vgprValuC+25], acc6 // copy acc to vreg[9]
v_accvgpr_read_b32 v[vgprValuC+26], acc10 // copy acc to vreg[10]
v_accvgpr_read_b32 v[vgprValuC+27], acc14 // copy acc to vreg[11]
v_accvgpr_read_b32 v[vgprValuC+32], acc3 // copy acc to vreg[12]
v_accvgpr_read_b32 v[vgprValuC+33], acc7 // copy acc to vreg[13]
v_accvgpr_read_b32 v[vgprValuC+34], acc11 // copy acc to vreg[14]
v_accvgpr_read_b32 v[vgprValuC+35], acc15 // copy acc to vreg[15]
v_accvgpr_read_b32 v[vgprValuC+36], acc16 // copy acc to vreg[16]
v_accvgpr_read_b32 v[vgprValuC+37], acc20 // copy acc to vreg[17]
v_accvgpr_read_b32 v[vgprValuC+38], acc24 // copy acc to vreg[18]
v_accvgpr_read_b32 v[vgprValuC+39], acc28 // copy acc to vreg[19]
v_accvgpr_read_b32 v[vgprValuC+40], acc17 // copy acc to vreg[20]
v_accvgpr_read_b32 v[vgprValuC+41], acc21 // copy acc to vreg[21]
v_accvgpr_read_b32 v[vgprValuC+42], acc25 // copy acc to vreg[22]
v_accvgpr_read_b32 v[vgprValuC+43], acc29 // copy acc to vreg[23]
v_accvgpr_read_b32 v[vgprValuC+44], acc18 // copy acc to vreg[24]
v_accvgpr_read_b32 v[vgprValuC+45], acc22 // copy acc to vreg[25]
v_accvgpr_read_b32 v[vgprValuC+46], acc26 // copy acc to vreg[26]
v_accvgpr_read_b32 v[vgprValuC+47], acc30 // copy acc to vreg[27]
v_accvgpr_read_b32 v[vgprValuC+52], acc19 // copy acc to vreg[28]
v_accvgpr_read_b32 v[vgprValuC+53], acc23 // copy acc to vreg[29]
v_accvgpr_read_b32 v[vgprValuC+54], acc27 // copy acc to vreg[30]
v_accvgpr_read_b32 v[vgprValuC+55], acc31 // copy acc to vreg[31]
v_accvgpr_read_b32 v[vgprValuC+56], acc32 // copy acc to vreg[32]
v_accvgpr_read_b32 v[vgprValuC+57], acc36 // copy acc to vreg[33]
v_accvgpr_read_b32 v[vgprValuC+58], acc40 // copy acc to vreg[34]
v_accvgpr_read_b32 v[vgprValuC+59], acc44 // copy acc to vreg[35]
v_accvgpr_read_b32 v[vgprValuC+60], acc33 // copy acc to vreg[36]
v_accvgpr_read_b32 v[vgprValuC+61], acc37 // copy acc to vreg[37]
v_accvgpr_read_b32 v[vgprValuC+62], acc41 // copy acc to vreg[38]
v_accvgpr_read_b32 v[vgprValuC+63], acc45 // copy acc to vreg[39]
v_accvgpr_read_b32 v[vgprValuC+64], acc34 // copy acc to vreg[40]
v_accvgpr_read_b32 v[vgprValuC+65], acc38 // copy acc to vreg[41]
v_accvgpr_read_b32 v[vgprValuC+66], acc42 // copy acc to vreg[42]
v_accvgpr_read_b32 v[vgprValuC+67], acc46 // copy acc to vreg[43]
v_accvgpr_read_b32 v[vgprValuC+72], acc35 // copy acc to vreg[44]
v_accvgpr_read_b32 v[vgprValuC+73], acc39 // copy acc to vreg[45]
v_accvgpr_read_b32 v[vgprValuC+74], acc43 // copy acc to vreg[46]
v_accvgpr_read_b32 v[vgprValuC+75], acc47 // copy acc to vreg[47]
v_accvgpr_read_b32 v[vgprValuC+76], acc48 // copy acc to vreg[48]
v_accvgpr_read_b32 v[vgprValuC+77], acc52 // copy acc to vreg[49]
v_accvgpr_read_b32 v[vgprValuC+78], acc56 // copy acc to vreg[50]
v_accvgpr_read_b32 v[vgprValuC+79], acc60 // copy acc to vreg[51]
v_accvgpr_read_b32 v[vgprValuC+80], acc49 // copy acc to vreg[52]
v_accvgpr_read_b32 v[vgprValuC+81], acc53 // copy acc to vreg[53]
v_accvgpr_read_b32 v[vgprValuC+82], acc57 // copy acc to vreg[54]
v_accvgpr_read_b32 v[vgprValuC+83], acc61 // copy acc to vreg[55]
v_accvgpr_read_b32 v[vgprValuC+84], acc50 // copy acc to vreg[56]
v_accvgpr_read_b32 v[vgprValuC+85], acc54 // copy acc to vreg[57]
v_accvgpr_read_b32 v[vgprValuC+86], acc58 // copy acc to vreg[58]
v_accvgpr_read_b32 v[vgprValuC+87], acc62 // copy acc to vreg[59]
v_accvgpr_read_b32 v[vgprValuC+92], acc51 // copy acc to vreg[60]
v_accvgpr_read_b32 v[vgprValuC+93], acc55 // copy acc to vreg[61]
v_accvgpr_read_b32 v[vgprValuC+94], acc59 // copy acc to vreg[62]
v_accvgpr_read_b32 v[vgprValuC+95], acc63 // copy acc to vreg[63]
v_accvgpr_read_b32 v[vgprValuC+96], acc64 // copy acc to vreg[64]
v_accvgpr_read_b32 v[vgprValuC+97], acc68 // copy acc to vreg[65]
v_accvgpr_read_b32 v[vgprValuC+98], acc72 // copy acc to vreg[66]
v_accvgpr_read_b32 v[vgprValuC+99], acc76 // copy acc to vreg[67]
v_accvgpr_read_b32 v[vgprValuC+100], acc65 // copy acc to vreg[68]
v_accvgpr_read_b32 v[vgprValuC+101], acc69 // copy acc to vreg[69]
v_accvgpr_read_b32 v[vgprValuC+102], acc73 // copy acc to vreg[70]
v_accvgpr_read_b32 v[vgprValuC+103], acc77 // copy acc to vreg[71]
v_accvgpr_read_b32 v[vgprValuC+104], acc66 // copy acc to vreg[72]
v_accvgpr_read_b32 v[vgprValuC+105], acc70 // copy acc to vreg[73]
v_accvgpr_read_b32 v[vgprValuC+106], acc74 // copy acc to vreg[74]
v_accvgpr_read_b32 v[vgprValuC+107], acc78 // copy acc to vreg[75]
v_accvgpr_read_b32 v[vgprValuC+112], acc67 // copy acc to vreg[76]
v_accvgpr_read_b32 v[vgprValuC+113], acc71 // copy acc to vreg[77]
v_accvgpr_read_b32 v[vgprValuC+114], acc75 // copy acc to vreg[78]
v_accvgpr_read_b32 v[vgprValuC+115], acc79 // copy acc to vreg[79]
v_accvgpr_read_b32 v[vgprValuC+116], acc80 // copy acc to vreg[80]
v_accvgpr_read_b32 v[vgprValuC+117], acc84 // copy acc to vreg[81]
v_accvgpr_read_b32 v[vgprValuC+118], acc88 // copy acc to vreg[82]
v_accvgpr_read_b32 v[vgprValuC+119], acc92 // copy acc to vreg[83]
v_accvgpr_read_b32 v[vgprValuC+120], acc81 // copy acc to vreg[84]
v_accvgpr_read_b32 v[vgprValuC+121], acc85 // copy acc to vreg[85]
v_accvgpr_read_b32 v[vgprValuC+122], acc89 // copy acc to vreg[86]
v_accvgpr_read_b32 v[vgprValuC+123], acc93 // copy acc to vreg[87]
v_accvgpr_read_b32 v[vgprValuC+128], acc82 // copy acc to vreg[88]
v_accvgpr_read_b32 v[vgprValuC+129], acc86 // copy acc to vreg[89]
v_accvgpr_read_b32 v[vgprValuC+130], acc90 // copy acc to vreg[90]
v_accvgpr_read_b32 v[vgprValuC+131], acc94 // copy acc to vreg[91]
v_accvgpr_read_b32 v[vgprValuC+136], acc83 // copy acc to vreg[92]
v_accvgpr_read_b32 v[vgprValuC+137], acc87 // copy acc to vreg[93]
v_accvgpr_read_b32 v[vgprValuC+138], acc91 // copy acc to vreg[94]
v_accvgpr_read_b32 v[vgprValuC+139], acc95 // copy acc to vreg[95]
v_accvgpr_read_b32 v[vgprValuC+140], acc96 // copy acc to vreg[96]
v_accvgpr_read_b32 v[vgprValuC+141], acc100 // copy acc to vreg[97]
v_accvgpr_read_b32 v[vgprValuC+142], acc104 // copy acc to vreg[98]
v_accvgpr_read_b32 v[vgprValuC+143], acc108 // copy acc to vreg[99]
v_accvgpr_read_b32 v[vgprValuC+144], acc97 // copy acc to vreg[100]
v_accvgpr_read_b32 v[vgprValuC+145], acc101 // copy acc to vreg[101]
v_accvgpr_read_b32 v[vgprValuC+146], acc105 // copy acc to vreg[102]
v_accvgpr_read_b32 v[vgprValuC+147], acc109 // copy acc to vreg[103]
v_accvgpr_read_b32 v[vgprValuC+148], acc98 // copy acc to vreg[104]
v_accvgpr_read_b32 v[vgprValuC+149], acc102 // copy acc to vreg[105]
v_accvgpr_read_b32 v[vgprValuC+150], acc106 // copy acc to vreg[106]
v_accvgpr_read_b32 v[vgprValuC+151], acc110 // copy acc to vreg[107]
v_accvgpr_read_b32 v[vgprValuC+156], acc99 // copy acc to vreg[108]
v_accvgpr_read_b32 v[vgprValuC+157], acc103 // copy acc to vreg[109]
v_accvgpr_read_b32 v[vgprValuC+158], acc107 // copy acc to vreg[110]
v_accvgpr_read_b32 v[vgprValuC+159], acc111 // copy acc to vreg[111]
v_accvgpr_read_b32 v[vgprValuC+160], acc112 // copy acc to vreg[112]
v_accvgpr_read_b32 v[vgprValuC+161], acc116 // copy acc to vreg[113]
v_accvgpr_read_b32 v[vgprValuC+162], acc120 // copy acc to vreg[114]
v_accvgpr_read_b32 v[vgprValuC+163], acc124 // copy acc to vreg[115]
v_accvgpr_read_b32 v[vgprValuC+164], acc113 // copy acc to vreg[116]
v_accvgpr_read_b32 v[vgprValuC+165], acc117 // copy acc to vreg[117]
v_accvgpr_read_b32 v[vgprValuC+166], acc121 // copy acc to vreg[118]
v_accvgpr_read_b32 v[vgprValuC+167], acc125 // copy acc to vreg[119]
v_accvgpr_read_b32 v[vgprValuC+168], acc114 // copy acc to vreg[120]
v_accvgpr_read_b32 v[vgprValuC+169], acc118 // copy acc to vreg[121]
v_accvgpr_read_b32 v[vgprValuC+170], acc122 // copy acc to vreg[122]
v_accvgpr_read_b32 v[vgprValuC+171], acc126 // copy acc to vreg[123]
v_accvgpr_read_b32 v[vgprValuC+176], acc115 // copy acc to vreg[124]
v_accvgpr_read_b32 v[vgprValuC+177], acc119 // copy acc to vreg[125]
v_accvgpr_read_b32 v[vgprValuC+178], acc123 // copy acc to vreg[126]
v_accvgpr_read_b32 v[vgprValuC+179], acc127 // copy acc to vreg[127]
v_accvgpr_read_b32 v[vgprValuC+180], acc128 // copy acc to vreg[128]
v_accvgpr_read_b32 v[vgprValuC+181], acc132 // copy acc to vreg[129]
v_accvgpr_read_b32 v[vgprValuC+182], acc136 // copy acc to vreg[130]
v_accvgpr_read_b32 v[vgprValuC+183], acc140 // copy acc to vreg[131]
v_accvgpr_read_b32 v[vgprValuC+184], acc129 // copy acc to vreg[132]
v_accvgpr_read_b32 v[vgprValuC+185], acc133 // copy acc to vreg[133]
v_accvgpr_read_b32 v[vgprValuC+186], acc137 // copy acc to vreg[134]
v_accvgpr_read_b32 v[vgprValuC+187], acc141 // copy acc to vreg[135]
v_accvgpr_read_b32 v[vgprValuC+188], acc130 // copy acc to vreg[136]
v_accvgpr_read_b32 v[vgprValuC+189], acc134 // copy acc to vreg[137]
v_accvgpr_read_b32 v[vgprValuC+190], acc138 // copy acc to vreg[138]
v_accvgpr_read_b32 v[vgprValuC+191], acc142 // copy acc to vreg[139]
v_accvgpr_read_b32 v[vgprValuC+196], acc131 // copy acc to vreg[140]
v_accvgpr_read_b32 v[vgprValuC+197], acc135 // copy acc to vreg[141]
v_accvgpr_read_b32 v[vgprValuC+198], acc139 // copy acc to vreg[142]
v_accvgpr_read_b32 v[vgprValuC+199], acc143 // copy acc to vreg[143]
v_accvgpr_read_b32 v[vgprValuC+200], acc144 // copy acc to vreg[144]
v_accvgpr_read_b32 v[vgprValuC+201], acc148 // copy acc to vreg[145]
v_accvgpr_read_b32 v[vgprValuC+202], acc152 // copy acc to vreg[146]
v_accvgpr_read_b32 v[vgprValuC+203], acc156 // copy acc to vreg[147]
v_accvgpr_read_b32 v[vgprValuC+204], acc145 // copy acc to vreg[148]
v_accvgpr_read_b32 v[vgprValuC+205], acc149 // copy acc to vreg[149]
v_accvgpr_read_b32 v[vgprValuC+206], acc153 // copy acc to vreg[150]
v_accvgpr_read_b32 v[vgprValuC+207], acc157 // copy acc to vreg[151]
v_accvgpr_read_b32 v[vgprValuC+208], acc146 // copy acc to vreg[152]
v_accvgpr_read_b32 v[vgprValuC+209], acc150 // copy acc to vreg[153]
v_accvgpr_read_b32 v[vgprValuC+210], acc154 // copy acc to vreg[154]
v_accvgpr_read_b32 v[vgprValuC+211], acc158 // copy acc to vreg[155]
v_accvgpr_read_b32 v[vgprValuC+216], acc147 // copy acc to vreg[156]
v_accvgpr_read_b32 v[vgprValuC+217], acc151 // copy acc to vreg[157]
v_accvgpr_read_b32 v[vgprValuC+218], acc155 // copy acc to vreg[158]
v_accvgpr_read_b32 v[vgprValuC+219], acc159 // copy acc to vreg[159]
v_accvgpr_read_b32 v[vgprValuC+220], acc160 // copy acc to vreg[160]
v_accvgpr_read_b32 v[vgprValuC+221], acc164 // copy acc to vreg[161]
v_accvgpr_read_b32 v[vgprValuC+222], acc168 // copy acc to vreg[162]
v_accvgpr_read_b32 v[vgprValuC+223], acc172 // copy acc to vreg[163]
v_accvgpr_read_b32 v[vgprValuC+224], acc161 // copy acc to vreg[164]
v_accvgpr_read_b32 v[vgprValuC+225], acc165 // copy acc to vreg[165]
v_accvgpr_read_b32 v[vgprValuC+226], acc169 // copy acc to vreg[166]
v_accvgpr_read_b32 v[vgprValuC+227], acc173 // copy acc to vreg[167]
v_accvgpr_read_b32 v[vgprValuC+228], acc162 // copy acc to vreg[168]
v_accvgpr_read_b32 v[vgprValuC+229], acc166 // copy acc to vreg[169]
v_accvgpr_read_b32 v[vgprValuC+230], acc170 // copy acc to vreg[170]
v_accvgpr_read_b32 v[vgprValuC+231], acc174 // copy acc to vreg[171]
v_accvgpr_read_b32 v[vgprValuC+236], acc163 // copy acc to vreg[172]
v_accvgpr_read_b32 v[vgprValuC+237], acc167 // copy acc to vreg[173]
v_accvgpr_read_b32 v[vgprValuC+238], acc171 // copy acc to vreg[174]
v_accvgpr_read_b32 v[vgprValuC+239], acc175 // copy acc to vreg[175]
v_accvgpr_read_b32 v[vgprValuC+240], acc176 // copy acc to vreg[176]
v_accvgpr_read_b32 v[vgprValuC+241], acc180 // copy acc to vreg[177]
v_accvgpr_read_b32 v[vgprValuC+242], acc184 // copy acc to vreg[178]
v_accvgpr_read_b32 v[vgprValuC+243], acc188 // copy acc to vreg[179]
v_accvgpr_read_b32 v[vgprValuC+244], acc177 // copy acc to vreg[180]
v_accvgpr_read_b32 v[vgprValuC+245], acc181 // copy acc to vreg[181]
v_accvgpr_read_b32 v[vgprValuC+246], acc185 // copy acc to vreg[182]
v_accvgpr_read_b32 v[vgprValuC+247], acc189 // copy acc to vreg[183]
s_nop 1                                            // 2 wait states required before reading vgpr

/* rC *= alpha batchElements=[(0, 0, 0, 0), (0, 0, 1, 0), (0, 0, 2, 0), (0, 0, 3, 0), (1, 0, 0, 0), (1, 0, 1, 0), (1, 0, 2, 0), (1, 0, 3, 0), (2, 0, 0, 0), (2, 0, 1, 0), (2, 0, 2, 0), (2, 0, 3, 0), (3, 0, 0, 0), (3, 0, 1, 0), (3, 0, 2, 0), (3, 0, 3, 0), (4, 0, 0, 0), (4, 0, 1, 0), (4, 0, 2, 0), (4, 0, 3, 0), (5, 0, 0, 0), (5, 0, 1, 0), (5, 0, 2, 0), (5, 0, 3, 0), (6, 0, 0, 0), (6, 0, 1, 0), (6, 0, 2, 0), (6, 0, 3, 0), (7, 0, 0, 0), (7, 0, 1, 0), (7, 0, 2, 0), (7, 0, 3, 0), (8, 0, 0, 0), (8, 0, 1, 0), (8, 0, 2, 0), (8, 0, 3, 0), (9, 0, 0, 0), (9, 0, 1, 0), (9, 0, 2, 0), (9, 0, 3, 0), (10, 0, 0, 0), (10, 0, 1, 0), (10, 0, 2, 0), (10, 0, 3, 0), (11, 0, 0, 0), (11, 0, 1, 0)] */
v_mul_f32 v[vgprValuC+16], s[sgprAlpha], v[vgprValuC+16] // *= alpha
v_mul_f32 v[vgprValuC+17], s[sgprAlpha], v[vgprValuC+17] // *= alpha
	;; [unrolled: 1-line block ×184, first 2 shown]

/* apply mask, calc new C and issue writes */
v_mov_b32 v10, 0x207                               // flag for Nan and +/- inf
v_mov_b32 v8, 0x47600000                           // save 57344.0f as max for clipping
v_mov_b32 v9, 0xC7600000                           // save -57344`.0f as min for clipping

s_waitcnt vmcnt(45)                                // wait C (interleaved) 45 = 46 - 0 + 0 - 1
V_cvt_pk_f32_bf8 v[6:7], v13    // convert two f8 in lo_16 to f32
_v_mac_f32 v[vgprValuC+16], v6, s[sgprBeta]        // finalSum = sum*alpha + C*beta
_v_mac_f32 v[vgprValuC+17], v7, s[sgprBeta]        // finalSum = sum*alpha + C*beta
V_cvt_pk_f32_bf8 v[6:7], v13  src0_sel:WORD_1  // convert two f8 in hi_16 to f32
_v_mac_f32 v[vgprValuC+18], v6, s[sgprBeta]        // finalSum = sum*alpha + C*beta
_v_mac_f32 v[vgprValuC+19], v7, s[sgprBeta]        // finalSum = sum*alpha + C*beta
v_cmp_class_f32 s[54:55], v[vgprValuC+16], v10     // check NaN and +/-INF
v_med3_f32 v6, v[vgprValuC+16], v8, v9             // Clipping f32 value if exceeds the limit
v_cndmask_b32 v6, v6, v[vgprValuC+16], s[54:55]    // 
v_cmp_class_f32 s[54:55], v[vgprValuC+17], v10     // check NaN and +/-INF
v_med3_f32 v7, v[vgprValuC+17], v8, v9             // Clipping f32 value if exceeds the limit
v_cndmask_b32 v7, v7, v[vgprValuC+17], s[54:55]    // 
v_cvt_pk_bf8_f32  v16, v6, v7 op_sel:[0,0,0]       // convert two f32 accumulated values to fp8 and save it to lo_16[0:15]
v_cmp_class_f32 s[54:55], v[vgprValuC+18], v10     // check NaN and +/-INF
v_med3_f32 v6, v[vgprValuC+18], v8, v9             // Clipping f32 value if exceeds the limit
v_cndmask_b32 v6, v6, v[vgprValuC+18], s[54:55]    // 
v_cmp_class_f32 s[54:55], v[vgprValuC+19], v10     // check NaN and +/-INF
v_med3_f32 v7, v[vgprValuC+19], v8, v9             // Clipping f32 value if exceeds the limit
v_cndmask_b32 v7, v7, v[vgprValuC+19], s[54:55]    // 
v_cvt_pk_bf8_f32  v16, v6, v7 op_sel:[0,0,1]       // convert two f32 accumulated values to fp8 and save it to hi_16[16:31]
_buffer_store_b32 v16, v11, s[sgprSrdD:sgprSrdD+3], 0, offen, offset:0,  sc0 sc1 // store D

s_waitcnt vmcnt(45)                                // wait C (interleaved) 45 = 46 - 1 + 1 - 1
V_cvt_pk_f32_bf8 v[6:7], v14    // convert two f8 in lo_16 to f32
_v_mac_f32 v[vgprValuC+20], v6, s[sgprBeta]        // finalSum = sum*alpha + C*beta
_v_mac_f32 v[vgprValuC+21], v7, s[sgprBeta]        // finalSum = sum*alpha + C*beta
V_cvt_pk_f32_bf8 v[6:7], v14  src0_sel:WORD_1  // convert two f8 in hi_16 to f32
_v_mac_f32 v[vgprValuC+22], v6, s[sgprBeta]        // finalSum = sum*alpha + C*beta
_v_mac_f32 v[vgprValuC+23], v7, s[sgprBeta]        // finalSum = sum*alpha + C*beta
v_cmp_class_f32 s[54:55], v[vgprValuC+20], v10     // check NaN and +/-INF
v_med3_f32 v6, v[vgprValuC+20], v8, v9             // Clipping f32 value if exceeds the limit
v_cndmask_b32 v6, v6, v[vgprValuC+20], s[54:55]    // 
v_cmp_class_f32 s[54:55], v[vgprValuC+21], v10     // check NaN and +/-INF
v_med3_f32 v7, v[vgprValuC+21], v8, v9             // Clipping f32 value if exceeds the limit
v_cndmask_b32 v7, v7, v[vgprValuC+21], s[54:55]    // 
v_cvt_pk_bf8_f32  v20, v6, v7 op_sel:[0,0,0]       // convert two f32 accumulated values to fp8 and save it to lo_16[0:15]
v_cmp_class_f32 s[54:55], v[vgprValuC+22], v10     // check NaN and +/-INF
v_med3_f32 v6, v[vgprValuC+22], v8, v9             // Clipping f32 value if exceeds the limit
v_cndmask_b32 v6, v6, v[vgprValuC+22], s[54:55]    // 
v_cmp_class_f32 s[54:55], v[vgprValuC+23], v10     // check NaN and +/-INF
v_med3_f32 v7, v[vgprValuC+23], v8, v9             // Clipping f32 value if exceeds the limit
v_cndmask_b32 v7, v7, v[vgprValuC+23], s[54:55]    // 
v_cvt_pk_bf8_f32  v20, v6, v7 op_sel:[0,0,1]       // convert two f32 accumulated values to fp8 and save it to hi_16[16:31]
s_lshl_b32  s54, s[sgprStrideD1J], 0               // incToNextRow: Scale by BPE
s_add_u32  s[sgprSrdD+0], s[sgprSrdD+0], s54       // incToNextRow: gra SRD += inc(lower)
s_addc_u32  s[sgprSrdD+1], s[sgprSrdD+1], 0        // incToNextRow: gra SRD += inc(upper)
_buffer_store_b32 v20, v11, s[sgprSrdD:sgprSrdD+3], 0, offen, offset:0,  sc0 sc1 // store D

s_waitcnt vmcnt(45)                                // wait C (interleaved) 45 = 46 - 2 + 2 - 1
V_cvt_pk_f32_bf8 v[6:7], v15    // convert two f8 in lo_16 to f32
_v_mac_f32 v[vgprValuC+24], v6, s[sgprBeta]        // finalSum = sum*alpha + C*beta
_v_mac_f32 v[vgprValuC+25], v7, s[sgprBeta]        // finalSum = sum*alpha + C*beta
V_cvt_pk_f32_bf8 v[6:7], v15  src0_sel:WORD_1  // convert two f8 in hi_16 to f32
_v_mac_f32 v[vgprValuC+26], v6, s[sgprBeta]        // finalSum = sum*alpha + C*beta
_v_mac_f32 v[vgprValuC+27], v7, s[sgprBeta]        // finalSum = sum*alpha + C*beta
v_cmp_class_f32 s[54:55], v[vgprValuC+24], v10     // check NaN and +/-INF
v_med3_f32 v6, v[vgprValuC+24], v8, v9             // Clipping f32 value if exceeds the limit
v_cndmask_b32 v6, v6, v[vgprValuC+24], s[54:55]    // 
v_cmp_class_f32 s[54:55], v[vgprValuC+25], v10     // check NaN and +/-INF
v_med3_f32 v7, v[vgprValuC+25], v8, v9             // Clipping f32 value if exceeds the limit
v_cndmask_b32 v7, v7, v[vgprValuC+25], s[54:55]    // 
v_cvt_pk_bf8_f32  v24, v6, v7 op_sel:[0,0,0]       // convert two f32 accumulated values to fp8 and save it to lo_16[0:15]
v_cmp_class_f32 s[54:55], v[vgprValuC+26], v10     // check NaN and +/-INF
v_med3_f32 v6, v[vgprValuC+26], v8, v9             // Clipping f32 value if exceeds the limit
v_cndmask_b32 v6, v6, v[vgprValuC+26], s[54:55]    // 
v_cmp_class_f32 s[54:55], v[vgprValuC+27], v10     // check NaN and +/-INF
v_med3_f32 v7, v[vgprValuC+27], v8, v9             // Clipping f32 value if exceeds the limit
v_cndmask_b32 v7, v7, v[vgprValuC+27], s[54:55]    // 
v_cvt_pk_bf8_f32  v24, v6, v7 op_sel:[0,0,1]       // convert two f32 accumulated values to fp8 and save it to hi_16[16:31]
s_lshl_b32  s54, s[sgprStrideD1J], 0               // incToNextRow: Scale by BPE
s_add_u32  s[sgprSrdD+0], s[sgprSrdD+0], s54       // incToNextRow: gra SRD += inc(lower)
s_addc_u32  s[sgprSrdD+1], s[sgprSrdD+1], 0        // incToNextRow: gra SRD += inc(upper)
	;; [unrolled: 26-line block ×3, first 2 shown]
_buffer_store_b32 v32, v11, s[sgprSrdD:sgprSrdD+3], 0, offen, offset:0,  sc0 sc1 // store D

s_waitcnt vmcnt(45)                                // wait C (interleaved) 45 = 46 - 4 + 4 - 1
V_cvt_pk_f32_bf8 v[6:7], v29    // convert two f8 in lo_16 to f32
_v_mac_f32 v[vgprValuC+36], v6, s[sgprBeta]        // finalSum = sum*alpha + C*beta
_v_mac_f32 v[vgprValuC+37], v7, s[sgprBeta]        // finalSum = sum*alpha + C*beta
V_cvt_pk_f32_bf8 v[6:7], v29  src0_sel:WORD_1  // convert two f8 in hi_16 to f32
_v_mac_f32 v[vgprValuC+38], v6, s[sgprBeta]        // finalSum = sum*alpha + C*beta
_v_mac_f32 v[vgprValuC+39], v7, s[sgprBeta]        // finalSum = sum*alpha + C*beta
v_cmp_class_f32 s[54:55], v[vgprValuC+36], v10     // check NaN and +/-INF
v_med3_f32 v6, v[vgprValuC+36], v8, v9             // Clipping f32 value if exceeds the limit
v_cndmask_b32 v6, v6, v[vgprValuC+36], s[54:55]    // 
v_cmp_class_f32 s[54:55], v[vgprValuC+37], v10     // check NaN and +/-INF
v_med3_f32 v7, v[vgprValuC+37], v8, v9             // Clipping f32 value if exceeds the limit
v_cndmask_b32 v7, v7, v[vgprValuC+37], s[54:55]    // 
v_cvt_pk_bf8_f32  v36, v6, v7 op_sel:[0,0,0]       // convert two f32 accumulated values to fp8 and save it to lo_16[0:15]
v_cmp_class_f32 s[54:55], v[vgprValuC+38], v10     // check NaN and +/-INF
v_med3_f32 v6, v[vgprValuC+38], v8, v9             // Clipping f32 value if exceeds the limit
v_cndmask_b32 v6, v6, v[vgprValuC+38], s[54:55]    // 
v_cmp_class_f32 s[54:55], v[vgprValuC+39], v10     // check NaN and +/-INF
v_med3_f32 v7, v[vgprValuC+39], v8, v9             // Clipping f32 value if exceeds the limit
v_cndmask_b32 v7, v7, v[vgprValuC+39], s[54:55]    // 
v_cvt_pk_bf8_f32  v36, v6, v7 op_sel:[0,0,1]       // convert two f32 accumulated values to fp8 and save it to hi_16[16:31]
s_mul_i32 s54, s[sgprStrideD1J], 13                // scale StrideD *= numRows(13) * bpe
s_add_u32  s[sgprSrdD+0], s[sgprSrdD+0], s54       // incToNextRow: gra SRD += inc(lower)
s_addc_u32  s[sgprSrdD+1], s[sgprSrdD+1], 0        // incToNextRow: gra SRD += inc(upper)
_buffer_store_b32 v36, v11, s[sgprSrdD:sgprSrdD+3], 0, offen, offset:0,  sc0 sc1 // store D

s_waitcnt vmcnt(45)                                // wait C (interleaved) 45 = 46 - 5 + 5 - 1
V_cvt_pk_f32_bf8 v[6:7], v30    // convert two f8 in lo_16 to f32
_v_mac_f32 v[vgprValuC+40], v6, s[sgprBeta]        // finalSum = sum*alpha + C*beta
_v_mac_f32 v[vgprValuC+41], v7, s[sgprBeta]        // finalSum = sum*alpha + C*beta
V_cvt_pk_f32_bf8 v[6:7], v30  src0_sel:WORD_1  // convert two f8 in hi_16 to f32
_v_mac_f32 v[vgprValuC+42], v6, s[sgprBeta]        // finalSum = sum*alpha + C*beta
_v_mac_f32 v[vgprValuC+43], v7, s[sgprBeta]        // finalSum = sum*alpha + C*beta
v_cmp_class_f32 s[54:55], v[vgprValuC+40], v10     // check NaN and +/-INF
v_med3_f32 v6, v[vgprValuC+40], v8, v9             // Clipping f32 value if exceeds the limit
v_cndmask_b32 v6, v6, v[vgprValuC+40], s[54:55]    // 
v_cmp_class_f32 s[54:55], v[vgprValuC+41], v10     // check NaN and +/-INF
v_med3_f32 v7, v[vgprValuC+41], v8, v9             // Clipping f32 value if exceeds the limit
v_cndmask_b32 v7, v7, v[vgprValuC+41], s[54:55]    // 
v_cvt_pk_bf8_f32  v40, v6, v7 op_sel:[0,0,0]       // convert two f32 accumulated values to fp8 and save it to lo_16[0:15]
v_cmp_class_f32 s[54:55], v[vgprValuC+42], v10     // check NaN and +/-INF
v_med3_f32 v6, v[vgprValuC+42], v8, v9             // Clipping f32 value if exceeds the limit
v_cndmask_b32 v6, v6, v[vgprValuC+42], s[54:55]    // 
v_cmp_class_f32 s[54:55], v[vgprValuC+43], v10     // check NaN and +/-INF
v_med3_f32 v7, v[vgprValuC+43], v8, v9             // Clipping f32 value if exceeds the limit
v_cndmask_b32 v7, v7, v[vgprValuC+43], s[54:55]    // 
v_cvt_pk_bf8_f32  v40, v6, v7 op_sel:[0,0,1]       // convert two f32 accumulated values to fp8 and save it to hi_16[16:31]
s_lshl_b32  s54, s[sgprStrideD1J], 0               // incToNextRow: Scale by BPE
s_add_u32  s[sgprSrdD+0], s[sgprSrdD+0], s54       // incToNextRow: gra SRD += inc(lower)
s_addc_u32  s[sgprSrdD+1], s[sgprSrdD+1], 0        // incToNextRow: gra SRD += inc(upper)
_buffer_store_b32 v40, v11, s[sgprSrdD:sgprSrdD+3], 0, offen, offset:0,  sc0 sc1 // store D

s_waitcnt vmcnt(45)                                // wait C (interleaved) 45 = 46 - 6 + 6 - 1
V_cvt_pk_f32_bf8 v[6:7], v31    // convert two f8 in lo_16 to f32
_v_mac_f32 v[vgprValuC+44], v6, s[sgprBeta]        // finalSum = sum*alpha + C*beta
_v_mac_f32 v[vgprValuC+45], v7, s[sgprBeta]        // finalSum = sum*alpha + C*beta
V_cvt_pk_f32_bf8 v[6:7], v31  src0_sel:WORD_1  // convert two f8 in hi_16 to f32
_v_mac_f32 v[vgprValuC+46], v6, s[sgprBeta]        // finalSum = sum*alpha + C*beta
_v_mac_f32 v[vgprValuC+47], v7, s[sgprBeta]        // finalSum = sum*alpha + C*beta
v_cmp_class_f32 s[54:55], v[vgprValuC+44], v10     // check NaN and +/-INF
v_med3_f32 v6, v[vgprValuC+44], v8, v9             // Clipping f32 value if exceeds the limit
v_cndmask_b32 v6, v6, v[vgprValuC+44], s[54:55]    // 
v_cmp_class_f32 s[54:55], v[vgprValuC+45], v10     // check NaN and +/-INF
v_med3_f32 v7, v[vgprValuC+45], v8, v9             // Clipping f32 value if exceeds the limit
v_cndmask_b32 v7, v7, v[vgprValuC+45], s[54:55]    // 
v_cvt_pk_bf8_f32  v44, v6, v7 op_sel:[0,0,0]       // convert two f32 accumulated values to fp8 and save it to lo_16[0:15]
v_cmp_class_f32 s[54:55], v[vgprValuC+46], v10     // check NaN and +/-INF
v_med3_f32 v6, v[vgprValuC+46], v8, v9             // Clipping f32 value if exceeds the limit
v_cndmask_b32 v6, v6, v[vgprValuC+46], s[54:55]    // 
v_cmp_class_f32 s[54:55], v[vgprValuC+47], v10     // check NaN and +/-INF
v_med3_f32 v7, v[vgprValuC+47], v8, v9             // Clipping f32 value if exceeds the limit
v_cndmask_b32 v7, v7, v[vgprValuC+47], s[54:55]    // 
v_cvt_pk_bf8_f32  v44, v6, v7 op_sel:[0,0,1]       // convert two f32 accumulated values to fp8 and save it to hi_16[16:31]
s_lshl_b32  s54, s[sgprStrideD1J], 0               // incToNextRow: Scale by BPE
s_add_u32  s[sgprSrdD+0], s[sgprSrdD+0], s54       // incToNextRow: gra SRD += inc(lower)
s_addc_u32  s[sgprSrdD+1], s[sgprSrdD+1], 0        // incToNextRow: gra SRD += inc(upper)
_buffer_store_b32 v44, v11, s[sgprSrdD:sgprSrdD+3], 0, offen, offset:0,  sc0 sc1 // store D

s_waitcnt vmcnt(45)                                // wait C (interleaved) 45 = 46 - 7 + 7 - 1
V_cvt_pk_f32_bf8 v[6:7], v48    // convert two f8 in lo_16 to f32
_v_mac_f32 v[vgprValuC+52], v6, s[sgprBeta]        // finalSum = sum*alpha + C*beta
_v_mac_f32 v[vgprValuC+53], v7, s[sgprBeta]        // finalSum = sum*alpha + C*beta
V_cvt_pk_f32_bf8 v[6:7], v48  src0_sel:WORD_1  // convert two f8 in hi_16 to f32
_v_mac_f32 v[vgprValuC+54], v6, s[sgprBeta]        // finalSum = sum*alpha + C*beta
_v_mac_f32 v[vgprValuC+55], v7, s[sgprBeta]        // finalSum = sum*alpha + C*beta
v_cmp_class_f32 s[54:55], v[vgprValuC+52], v10     // check NaN and +/-INF
v_med3_f32 v6, v[vgprValuC+52], v8, v9             // Clipping f32 value if exceeds the limit
v_cndmask_b32 v6, v6, v[vgprValuC+52], s[54:55]    // 
v_cmp_class_f32 s[54:55], v[vgprValuC+53], v10     // check NaN and +/-INF
v_med3_f32 v7, v[vgprValuC+53], v8, v9             // Clipping f32 value if exceeds the limit
v_cndmask_b32 v7, v7, v[vgprValuC+53], s[54:55]    // 
v_cvt_pk_bf8_f32  v52, v6, v7 op_sel:[0,0,0]       // convert two f32 accumulated values to fp8 and save it to lo_16[0:15]
v_cmp_class_f32 s[54:55], v[vgprValuC+54], v10     // check NaN and +/-INF
v_med3_f32 v6, v[vgprValuC+54], v8, v9             // Clipping f32 value if exceeds the limit
v_cndmask_b32 v6, v6, v[vgprValuC+54], s[54:55]    // 
v_cmp_class_f32 s[54:55], v[vgprValuC+55], v10     // check NaN and +/-INF
v_med3_f32 v7, v[vgprValuC+55], v8, v9             // Clipping f32 value if exceeds the limit
v_cndmask_b32 v7, v7, v[vgprValuC+55], s[54:55]    // 
v_cvt_pk_bf8_f32  v52, v6, v7 op_sel:[0,0,1]       // convert two f32 accumulated values to fp8 and save it to hi_16[16:31]
s_lshl_b32  s54, s[sgprStrideD1J], 0               // incToNextRow: Scale by BPE
s_add_u32  s[sgprSrdD+0], s[sgprSrdD+0], s54       // incToNextRow: gra SRD += inc(lower)
s_addc_u32  s[sgprSrdD+1], s[sgprSrdD+1], 0        // incToNextRow: gra SRD += inc(upper)
_buffer_store_b32 v52, v11, s[sgprSrdD:sgprSrdD+3], 0, offen, offset:0,  sc0 sc1 // store D

s_waitcnt vmcnt(45)                                // wait C (interleaved) 45 = 46 - 8 + 8 - 1
V_cvt_pk_f32_bf8 v[6:7], v49    // convert two f8 in lo_16 to f32
_v_mac_f32 v[vgprValuC+56], v6, s[sgprBeta]        // finalSum = sum*alpha + C*beta
_v_mac_f32 v[vgprValuC+57], v7, s[sgprBeta]        // finalSum = sum*alpha + C*beta
V_cvt_pk_f32_bf8 v[6:7], v49  src0_sel:WORD_1  // convert two f8 in hi_16 to f32
_v_mac_f32 v[vgprValuC+58], v6, s[sgprBeta]        // finalSum = sum*alpha + C*beta
_v_mac_f32 v[vgprValuC+59], v7, s[sgprBeta]        // finalSum = sum*alpha + C*beta
v_cmp_class_f32 s[54:55], v[vgprValuC+56], v10     // check NaN and +/-INF
v_med3_f32 v6, v[vgprValuC+56], v8, v9             // Clipping f32 value if exceeds the limit
v_cndmask_b32 v6, v6, v[vgprValuC+56], s[54:55]    // 
v_cmp_class_f32 s[54:55], v[vgprValuC+57], v10     // check NaN and +/-INF
v_med3_f32 v7, v[vgprValuC+57], v8, v9             // Clipping f32 value if exceeds the limit
v_cndmask_b32 v7, v7, v[vgprValuC+57], s[54:55]    // 
v_cvt_pk_bf8_f32  v56, v6, v7 op_sel:[0,0,0]       // convert two f32 accumulated values to fp8 and save it to lo_16[0:15]
v_cmp_class_f32 s[54:55], v[vgprValuC+58], v10     // check NaN and +/-INF
v_med3_f32 v6, v[vgprValuC+58], v8, v9             // Clipping f32 value if exceeds the limit
v_cndmask_b32 v6, v6, v[vgprValuC+58], s[54:55]    // 
v_cmp_class_f32 s[54:55], v[vgprValuC+59], v10     // check NaN and +/-INF
v_med3_f32 v7, v[vgprValuC+59], v8, v9             // Clipping f32 value if exceeds the limit
v_cndmask_b32 v7, v7, v[vgprValuC+59], s[54:55]    // 
v_cvt_pk_bf8_f32  v56, v6, v7 op_sel:[0,0,1]       // convert two f32 accumulated values to fp8 and save it to hi_16[16:31]
s_mul_i32 s54, s[sgprStrideD1J], 13                // scale StrideD *= numRows(13) * bpe
s_add_u32  s[sgprSrdD+0], s[sgprSrdD+0], s54       // incToNextRow: gra SRD += inc(lower)
s_addc_u32  s[sgprSrdD+1], s[sgprSrdD+1], 0        // incToNextRow: gra SRD += inc(upper)
_buffer_store_b32 v56, v11, s[sgprSrdD:sgprSrdD+3], 0, offen, offset:0,  sc0 sc1 // store D

s_waitcnt vmcnt(45)                                // wait C (interleaved) 45 = 46 - 9 + 9 - 1
V_cvt_pk_f32_bf8 v[6:7], v50    // convert two f8 in lo_16 to f32
_v_mac_f32 v[vgprValuC+60], v6, s[sgprBeta]        // finalSum = sum*alpha + C*beta
_v_mac_f32 v[vgprValuC+61], v7, s[sgprBeta]        // finalSum = sum*alpha + C*beta
V_cvt_pk_f32_bf8 v[6:7], v50  src0_sel:WORD_1  // convert two f8 in hi_16 to f32
_v_mac_f32 v[vgprValuC+62], v6, s[sgprBeta]        // finalSum = sum*alpha + C*beta
_v_mac_f32 v[vgprValuC+63], v7, s[sgprBeta]        // finalSum = sum*alpha + C*beta
v_cmp_class_f32 s[54:55], v[vgprValuC+60], v10     // check NaN and +/-INF
v_med3_f32 v6, v[vgprValuC+60], v8, v9             // Clipping f32 value if exceeds the limit
v_cndmask_b32 v6, v6, v[vgprValuC+60], s[54:55]    // 
v_cmp_class_f32 s[54:55], v[vgprValuC+61], v10     // check NaN and +/-INF
v_med3_f32 v7, v[vgprValuC+61], v8, v9             // Clipping f32 value if exceeds the limit
v_cndmask_b32 v7, v7, v[vgprValuC+61], s[54:55]    // 
v_cvt_pk_bf8_f32  v60, v6, v7 op_sel:[0,0,0]       // convert two f32 accumulated values to fp8 and save it to lo_16[0:15]
v_cmp_class_f32 s[54:55], v[vgprValuC+62], v10     // check NaN and +/-INF
v_med3_f32 v6, v[vgprValuC+62], v8, v9             // Clipping f32 value if exceeds the limit
v_cndmask_b32 v6, v6, v[vgprValuC+62], s[54:55]    // 
v_cmp_class_f32 s[54:55], v[vgprValuC+63], v10     // check NaN and +/-INF
v_med3_f32 v7, v[vgprValuC+63], v8, v9             // Clipping f32 value if exceeds the limit
v_cndmask_b32 v7, v7, v[vgprValuC+63], s[54:55]    // 
v_cvt_pk_bf8_f32  v60, v6, v7 op_sel:[0,0,1]       // convert two f32 accumulated values to fp8 and save it to hi_16[16:31]
s_lshl_b32  s54, s[sgprStrideD1J], 0               // incToNextRow: Scale by BPE
s_add_u32  s[sgprSrdD+0], s[sgprSrdD+0], s54       // incToNextRow: gra SRD += inc(lower)
s_addc_u32  s[sgprSrdD+1], s[sgprSrdD+1], 0        // incToNextRow: gra SRD += inc(upper)
_buffer_store_b32 v60, v11, s[sgprSrdD:sgprSrdD+3], 0, offen, offset:0,  sc0 sc1 // store D

s_waitcnt vmcnt(45)                                // wait C (interleaved) 45 = 46 - 10 + 10 - 1
V_cvt_pk_f32_bf8 v[6:7], v51    // convert two f8 in lo_16 to f32
_v_mac_f32 v[vgprValuC+64], v6, s[sgprBeta]        // finalSum = sum*alpha + C*beta
_v_mac_f32 v[vgprValuC+65], v7, s[sgprBeta]        // finalSum = sum*alpha + C*beta
V_cvt_pk_f32_bf8 v[6:7], v51  src0_sel:WORD_1  // convert two f8 in hi_16 to f32
_v_mac_f32 v[vgprValuC+66], v6, s[sgprBeta]        // finalSum = sum*alpha + C*beta
_v_mac_f32 v[vgprValuC+67], v7, s[sgprBeta]        // finalSum = sum*alpha + C*beta
v_cmp_class_f32 s[54:55], v[vgprValuC+64], v10     // check NaN and +/-INF
v_med3_f32 v6, v[vgprValuC+64], v8, v9             // Clipping f32 value if exceeds the limit
v_cndmask_b32 v6, v6, v[vgprValuC+64], s[54:55]    // 
v_cmp_class_f32 s[54:55], v[vgprValuC+65], v10     // check NaN and +/-INF
v_med3_f32 v7, v[vgprValuC+65], v8, v9             // Clipping f32 value if exceeds the limit
v_cndmask_b32 v7, v7, v[vgprValuC+65], s[54:55]    // 
v_cvt_pk_bf8_f32  v64, v6, v7 op_sel:[0,0,0]       // convert two f32 accumulated values to fp8 and save it to lo_16[0:15]
v_cmp_class_f32 s[54:55], v[vgprValuC+66], v10     // check NaN and +/-INF
v_med3_f32 v6, v[vgprValuC+66], v8, v9             // Clipping f32 value if exceeds the limit
v_cndmask_b32 v6, v6, v[vgprValuC+66], s[54:55]    // 
v_cmp_class_f32 s[54:55], v[vgprValuC+67], v10     // check NaN and +/-INF
v_med3_f32 v7, v[vgprValuC+67], v8, v9             // Clipping f32 value if exceeds the limit
v_cndmask_b32 v7, v7, v[vgprValuC+67], s[54:55]    // 
v_cvt_pk_bf8_f32  v64, v6, v7 op_sel:[0,0,1]       // convert two f32 accumulated values to fp8 and save it to hi_16[16:31]
s_lshl_b32  s54, s[sgprStrideD1J], 0               // incToNextRow: Scale by BPE
	;; [unrolled: 26-line block ×3, first 2 shown]
s_add_u32  s[sgprSrdD+0], s[sgprSrdD+0], s54       // incToNextRow: gra SRD += inc(lower)
s_addc_u32  s[sgprSrdD+1], s[sgprSrdD+1], 0        // incToNextRow: gra SRD += inc(upper)
_buffer_store_b32 v72, v11, s[sgprSrdD:sgprSrdD+3], 0, offen, offset:0,  sc0 sc1 // store D

s_waitcnt vmcnt(45)                                // wait C (interleaved) 45 = 46 - 12 + 12 - 1
V_cvt_pk_f32_bf8 v[6:7], v69    // convert two f8 in lo_16 to f32
_v_mac_f32 v[vgprValuC+76], v6, s[sgprBeta]        // finalSum = sum*alpha + C*beta
_v_mac_f32 v[vgprValuC+77], v7, s[sgprBeta]        // finalSum = sum*alpha + C*beta
V_cvt_pk_f32_bf8 v[6:7], v69  src0_sel:WORD_1  // convert two f8 in hi_16 to f32
_v_mac_f32 v[vgprValuC+78], v6, s[sgprBeta]        // finalSum = sum*alpha + C*beta
_v_mac_f32 v[vgprValuC+79], v7, s[sgprBeta]        // finalSum = sum*alpha + C*beta
v_cmp_class_f32 s[54:55], v[vgprValuC+76], v10     // check NaN and +/-INF
v_med3_f32 v6, v[vgprValuC+76], v8, v9             // Clipping f32 value if exceeds the limit
v_cndmask_b32 v6, v6, v[vgprValuC+76], s[54:55]    // 
v_cmp_class_f32 s[54:55], v[vgprValuC+77], v10     // check NaN and +/-INF
v_med3_f32 v7, v[vgprValuC+77], v8, v9             // Clipping f32 value if exceeds the limit
v_cndmask_b32 v7, v7, v[vgprValuC+77], s[54:55]    // 
v_cvt_pk_bf8_f32  v76, v6, v7 op_sel:[0,0,0]       // convert two f32 accumulated values to fp8 and save it to lo_16[0:15]
v_cmp_class_f32 s[54:55], v[vgprValuC+78], v10     // check NaN and +/-INF
v_med3_f32 v6, v[vgprValuC+78], v8, v9             // Clipping f32 value if exceeds the limit
v_cndmask_b32 v6, v6, v[vgprValuC+78], s[54:55]    // 
v_cmp_class_f32 s[54:55], v[vgprValuC+79], v10     // check NaN and +/-INF
v_med3_f32 v7, v[vgprValuC+79], v8, v9             // Clipping f32 value if exceeds the limit
v_cndmask_b32 v7, v7, v[vgprValuC+79], s[54:55]    // 
v_cvt_pk_bf8_f32  v76, v6, v7 op_sel:[0,0,1]       // convert two f32 accumulated values to fp8 and save it to hi_16[16:31]
s_mul_i32 s54, s[sgprStrideD1J], 13                // scale StrideD *= numRows(13) * bpe
s_add_u32  s[sgprSrdD+0], s[sgprSrdD+0], s54       // incToNextRow: gra SRD += inc(lower)
s_addc_u32  s[sgprSrdD+1], s[sgprSrdD+1], 0        // incToNextRow: gra SRD += inc(upper)
_buffer_store_b32 v76, v11, s[sgprSrdD:sgprSrdD+3], 0, offen, offset:0,  sc0 sc1 // store D

s_waitcnt vmcnt(45)                                // wait C (interleaved) 45 = 46 - 13 + 13 - 1
V_cvt_pk_f32_bf8 v[6:7], v70    // convert two f8 in lo_16 to f32
_v_mac_f32 v[vgprValuC+80], v6, s[sgprBeta]        // finalSum = sum*alpha + C*beta
_v_mac_f32 v[vgprValuC+81], v7, s[sgprBeta]        // finalSum = sum*alpha + C*beta
V_cvt_pk_f32_bf8 v[6:7], v70  src0_sel:WORD_1  // convert two f8 in hi_16 to f32
_v_mac_f32 v[vgprValuC+82], v6, s[sgprBeta]        // finalSum = sum*alpha + C*beta
_v_mac_f32 v[vgprValuC+83], v7, s[sgprBeta]        // finalSum = sum*alpha + C*beta
v_cmp_class_f32 s[54:55], v[vgprValuC+80], v10     // check NaN and +/-INF
v_med3_f32 v6, v[vgprValuC+80], v8, v9             // Clipping f32 value if exceeds the limit
v_cndmask_b32 v6, v6, v[vgprValuC+80], s[54:55]    // 
v_cmp_class_f32 s[54:55], v[vgprValuC+81], v10     // check NaN and +/-INF
v_med3_f32 v7, v[vgprValuC+81], v8, v9             // Clipping f32 value if exceeds the limit
v_cndmask_b32 v7, v7, v[vgprValuC+81], s[54:55]    // 
v_cvt_pk_bf8_f32  v80, v6, v7 op_sel:[0,0,0]       // convert two f32 accumulated values to fp8 and save it to lo_16[0:15]
v_cmp_class_f32 s[54:55], v[vgprValuC+82], v10     // check NaN and +/-INF
v_med3_f32 v6, v[vgprValuC+82], v8, v9             // Clipping f32 value if exceeds the limit
v_cndmask_b32 v6, v6, v[vgprValuC+82], s[54:55]    // 
v_cmp_class_f32 s[54:55], v[vgprValuC+83], v10     // check NaN and +/-INF
v_med3_f32 v7, v[vgprValuC+83], v8, v9             // Clipping f32 value if exceeds the limit
v_cndmask_b32 v7, v7, v[vgprValuC+83], s[54:55]    // 
v_cvt_pk_bf8_f32  v80, v6, v7 op_sel:[0,0,1]       // convert two f32 accumulated values to fp8 and save it to hi_16[16:31]
s_lshl_b32  s54, s[sgprStrideD1J], 0               // incToNextRow: Scale by BPE
s_add_u32  s[sgprSrdD+0], s[sgprSrdD+0], s54       // incToNextRow: gra SRD += inc(lower)
s_addc_u32  s[sgprSrdD+1], s[sgprSrdD+1], 0        // incToNextRow: gra SRD += inc(upper)
_buffer_store_b32 v80, v11, s[sgprSrdD:sgprSrdD+3], 0, offen, offset:0,  sc0 sc1 // store D

s_waitcnt vmcnt(45)                                // wait C (interleaved) 45 = 46 - 14 + 14 - 1
V_cvt_pk_f32_bf8 v[6:7], v71    // convert two f8 in lo_16 to f32
_v_mac_f32 v[vgprValuC+84], v6, s[sgprBeta]        // finalSum = sum*alpha + C*beta
_v_mac_f32 v[vgprValuC+85], v7, s[sgprBeta]        // finalSum = sum*alpha + C*beta
V_cvt_pk_f32_bf8 v[6:7], v71  src0_sel:WORD_1  // convert two f8 in hi_16 to f32
_v_mac_f32 v[vgprValuC+86], v6, s[sgprBeta]        // finalSum = sum*alpha + C*beta
_v_mac_f32 v[vgprValuC+87], v7, s[sgprBeta]        // finalSum = sum*alpha + C*beta
v_cmp_class_f32 s[54:55], v[vgprValuC+84], v10     // check NaN and +/-INF
v_med3_f32 v6, v[vgprValuC+84], v8, v9             // Clipping f32 value if exceeds the limit
v_cndmask_b32 v6, v6, v[vgprValuC+84], s[54:55]    // 
v_cmp_class_f32 s[54:55], v[vgprValuC+85], v10     // check NaN and +/-INF
v_med3_f32 v7, v[vgprValuC+85], v8, v9             // Clipping f32 value if exceeds the limit
v_cndmask_b32 v7, v7, v[vgprValuC+85], s[54:55]    // 
v_cvt_pk_bf8_f32  v84, v6, v7 op_sel:[0,0,0]       // convert two f32 accumulated values to fp8 and save it to lo_16[0:15]
v_cmp_class_f32 s[54:55], v[vgprValuC+86], v10     // check NaN and +/-INF
v_med3_f32 v6, v[vgprValuC+86], v8, v9             // Clipping f32 value if exceeds the limit
v_cndmask_b32 v6, v6, v[vgprValuC+86], s[54:55]    // 
v_cmp_class_f32 s[54:55], v[vgprValuC+87], v10     // check NaN and +/-INF
v_med3_f32 v7, v[vgprValuC+87], v8, v9             // Clipping f32 value if exceeds the limit
v_cndmask_b32 v7, v7, v[vgprValuC+87], s[54:55]    // 
v_cvt_pk_bf8_f32  v84, v6, v7 op_sel:[0,0,1]       // convert two f32 accumulated values to fp8 and save it to hi_16[16:31]
s_lshl_b32  s54, s[sgprStrideD1J], 0               // incToNextRow: Scale by BPE
	;; [unrolled: 26-line block ×3, first 2 shown]
s_add_u32  s[sgprSrdD+0], s[sgprSrdD+0], s54       // incToNextRow: gra SRD += inc(lower)
s_addc_u32  s[sgprSrdD+1], s[sgprSrdD+1], 0        // incToNextRow: gra SRD += inc(upper)
_buffer_store_b32 v92, v11, s[sgprSrdD:sgprSrdD+3], 0, offen, offset:0,  sc0 sc1 // store D

s_waitcnt vmcnt(45)                                // wait C (interleaved) 45 = 46 - 16 + 16 - 1
V_cvt_pk_f32_bf8 v[6:7], v89    // convert two f8 in lo_16 to f32
_v_mac_f32 v[vgprValuC+96], v6, s[sgprBeta]        // finalSum = sum*alpha + C*beta
_v_mac_f32 v[vgprValuC+97], v7, s[sgprBeta]        // finalSum = sum*alpha + C*beta
V_cvt_pk_f32_bf8 v[6:7], v89  src0_sel:WORD_1  // convert two f8 in hi_16 to f32
_v_mac_f32 v[vgprValuC+98], v6, s[sgprBeta]        // finalSum = sum*alpha + C*beta
_v_mac_f32 v[vgprValuC+99], v7, s[sgprBeta]        // finalSum = sum*alpha + C*beta
v_cmp_class_f32 s[54:55], v[vgprValuC+96], v10     // check NaN and +/-INF
v_med3_f32 v6, v[vgprValuC+96], v8, v9             // Clipping f32 value if exceeds the limit
v_cndmask_b32 v6, v6, v[vgprValuC+96], s[54:55]    // 
v_cmp_class_f32 s[54:55], v[vgprValuC+97], v10     // check NaN and +/-INF
v_med3_f32 v7, v[vgprValuC+97], v8, v9             // Clipping f32 value if exceeds the limit
v_cndmask_b32 v7, v7, v[vgprValuC+97], s[54:55]    // 
v_cvt_pk_bf8_f32  v96, v6, v7 op_sel:[0,0,0]       // convert two f32 accumulated values to fp8 and save it to lo_16[0:15]
v_cmp_class_f32 s[54:55], v[vgprValuC+98], v10     // check NaN and +/-INF
v_med3_f32 v6, v[vgprValuC+98], v8, v9             // Clipping f32 value if exceeds the limit
v_cndmask_b32 v6, v6, v[vgprValuC+98], s[54:55]    // 
v_cmp_class_f32 s[54:55], v[vgprValuC+99], v10     // check NaN and +/-INF
v_med3_f32 v7, v[vgprValuC+99], v8, v9             // Clipping f32 value if exceeds the limit
v_cndmask_b32 v7, v7, v[vgprValuC+99], s[54:55]    // 
v_cvt_pk_bf8_f32  v96, v6, v7 op_sel:[0,0,1]       // convert two f32 accumulated values to fp8 and save it to hi_16[16:31]
s_mul_i32 s54, s[sgprStrideD1J], 13                // scale StrideD *= numRows(13) * bpe
s_add_u32  s[sgprSrdD+0], s[sgprSrdD+0], s54       // incToNextRow: gra SRD += inc(lower)
s_addc_u32  s[sgprSrdD+1], s[sgprSrdD+1], 0        // incToNextRow: gra SRD += inc(upper)
_buffer_store_b32 v96, v11, s[sgprSrdD:sgprSrdD+3], 0, offen, offset:0,  sc0 sc1 // store D

s_waitcnt vmcnt(45)                                // wait C (interleaved) 45 = 46 - 17 + 17 - 1
V_cvt_pk_f32_bf8 v[6:7], v90    // convert two f8 in lo_16 to f32
_v_mac_f32 v[vgprValuC+100], v6, s[sgprBeta]       // finalSum = sum*alpha + C*beta
_v_mac_f32 v[vgprValuC+101], v7, s[sgprBeta]       // finalSum = sum*alpha + C*beta
V_cvt_pk_f32_bf8 v[6:7], v90  src0_sel:WORD_1  // convert two f8 in hi_16 to f32
_v_mac_f32 v[vgprValuC+102], v6, s[sgprBeta]       // finalSum = sum*alpha + C*beta
_v_mac_f32 v[vgprValuC+103], v7, s[sgprBeta]       // finalSum = sum*alpha + C*beta
v_cmp_class_f32 s[54:55], v[vgprValuC+100], v10    // check NaN and +/-INF
v_med3_f32 v6, v[vgprValuC+100], v8, v9            // Clipping f32 value if exceeds the limit
v_cndmask_b32 v6, v6, v[vgprValuC+100], s[54:55]   // 
v_cmp_class_f32 s[54:55], v[vgprValuC+101], v10    // check NaN and +/-INF
v_med3_f32 v7, v[vgprValuC+101], v8, v9            // Clipping f32 value if exceeds the limit
v_cndmask_b32 v7, v7, v[vgprValuC+101], s[54:55]   // 
v_cvt_pk_bf8_f32  v100, v6, v7 op_sel:[0,0,0]      // convert two f32 accumulated values to fp8 and save it to lo_16[0:15]
v_cmp_class_f32 s[54:55], v[vgprValuC+102], v10    // check NaN and +/-INF
v_med3_f32 v6, v[vgprValuC+102], v8, v9            // Clipping f32 value if exceeds the limit
v_cndmask_b32 v6, v6, v[vgprValuC+102], s[54:55]   // 
v_cmp_class_f32 s[54:55], v[vgprValuC+103], v10    // check NaN and +/-INF
v_med3_f32 v7, v[vgprValuC+103], v8, v9            // Clipping f32 value if exceeds the limit
v_cndmask_b32 v7, v7, v[vgprValuC+103], s[54:55]   // 
v_cvt_pk_bf8_f32  v100, v6, v7 op_sel:[0,0,1]      // convert two f32 accumulated values to fp8 and save it to hi_16[16:31]
s_lshl_b32  s54, s[sgprStrideD1J], 0               // incToNextRow: Scale by BPE
s_add_u32  s[sgprSrdD+0], s[sgprSrdD+0], s54       // incToNextRow: gra SRD += inc(lower)
s_addc_u32  s[sgprSrdD+1], s[sgprSrdD+1], 0        // incToNextRow: gra SRD += inc(upper)
_buffer_store_b32 v100, v11, s[sgprSrdD:sgprSrdD+3], 0, offen, offset:0,  sc0 sc1 // store D

s_waitcnt vmcnt(45)                                // wait C (interleaved) 45 = 46 - 18 + 18 - 1
V_cvt_pk_f32_bf8 v[6:7], v91    // convert two f8 in lo_16 to f32
_v_mac_f32 v[vgprValuC+104], v6, s[sgprBeta]       // finalSum = sum*alpha + C*beta
_v_mac_f32 v[vgprValuC+105], v7, s[sgprBeta]       // finalSum = sum*alpha + C*beta
V_cvt_pk_f32_bf8 v[6:7], v91  src0_sel:WORD_1  // convert two f8 in hi_16 to f32
_v_mac_f32 v[vgprValuC+106], v6, s[sgprBeta]       // finalSum = sum*alpha + C*beta
_v_mac_f32 v[vgprValuC+107], v7, s[sgprBeta]       // finalSum = sum*alpha + C*beta
v_cmp_class_f32 s[54:55], v[vgprValuC+104], v10    // check NaN and +/-INF
v_med3_f32 v6, v[vgprValuC+104], v8, v9            // Clipping f32 value if exceeds the limit
v_cndmask_b32 v6, v6, v[vgprValuC+104], s[54:55]   // 
v_cmp_class_f32 s[54:55], v[vgprValuC+105], v10    // check NaN and +/-INF
v_med3_f32 v7, v[vgprValuC+105], v8, v9            // Clipping f32 value if exceeds the limit
v_cndmask_b32 v7, v7, v[vgprValuC+105], s[54:55]   // 
v_cvt_pk_bf8_f32  v104, v6, v7 op_sel:[0,0,0]      // convert two f32 accumulated values to fp8 and save it to lo_16[0:15]
v_cmp_class_f32 s[54:55], v[vgprValuC+106], v10    // check NaN and +/-INF
v_med3_f32 v6, v[vgprValuC+106], v8, v9            // Clipping f32 value if exceeds the limit
v_cndmask_b32 v6, v6, v[vgprValuC+106], s[54:55]   // 
v_cmp_class_f32 s[54:55], v[vgprValuC+107], v10    // check NaN and +/-INF
v_med3_f32 v7, v[vgprValuC+107], v8, v9            // Clipping f32 value if exceeds the limit
v_cndmask_b32 v7, v7, v[vgprValuC+107], s[54:55]   // 
v_cvt_pk_bf8_f32  v104, v6, v7 op_sel:[0,0,1]      // convert two f32 accumulated values to fp8 and save it to hi_16[16:31]
s_lshl_b32  s54, s[sgprStrideD1J], 0               // incToNextRow: Scale by BPE
	;; [unrolled: 26-line block ×3, first 2 shown]
s_add_u32  s[sgprSrdD+0], s[sgprSrdD+0], s54       // incToNextRow: gra SRD += inc(lower)
s_addc_u32  s[sgprSrdD+1], s[sgprSrdD+1], 0        // incToNextRow: gra SRD += inc(upper)
_buffer_store_b32 v112, v11, s[sgprSrdD:sgprSrdD+3], 0, offen, offset:0,  sc0 sc1 // store D

s_waitcnt vmcnt(45)                                // wait C (interleaved) 45 = 46 - 20 + 20 - 1
V_cvt_pk_f32_bf8 v[6:7], v109    // convert two f8 in lo_16 to f32
_v_mac_f32 v[vgprValuC+116], v6, s[sgprBeta]       // finalSum = sum*alpha + C*beta
_v_mac_f32 v[vgprValuC+117], v7, s[sgprBeta]       // finalSum = sum*alpha + C*beta
V_cvt_pk_f32_bf8 v[6:7], v109  src0_sel:WORD_1  // convert two f8 in hi_16 to f32
_v_mac_f32 v[vgprValuC+118], v6, s[sgprBeta]       // finalSum = sum*alpha + C*beta
_v_mac_f32 v[vgprValuC+119], v7, s[sgprBeta]       // finalSum = sum*alpha + C*beta
v_cmp_class_f32 s[54:55], v[vgprValuC+116], v10    // check NaN and +/-INF
v_med3_f32 v6, v[vgprValuC+116], v8, v9            // Clipping f32 value if exceeds the limit
v_cndmask_b32 v6, v6, v[vgprValuC+116], s[54:55]   // 
v_cmp_class_f32 s[54:55], v[vgprValuC+117], v10    // check NaN and +/-INF
v_med3_f32 v7, v[vgprValuC+117], v8, v9            // Clipping f32 value if exceeds the limit
v_cndmask_b32 v7, v7, v[vgprValuC+117], s[54:55]   // 
v_cvt_pk_bf8_f32  v116, v6, v7 op_sel:[0,0,0]      // convert two f32 accumulated values to fp8 and save it to lo_16[0:15]
v_cmp_class_f32 s[54:55], v[vgprValuC+118], v10    // check NaN and +/-INF
v_med3_f32 v6, v[vgprValuC+118], v8, v9            // Clipping f32 value if exceeds the limit
v_cndmask_b32 v6, v6, v[vgprValuC+118], s[54:55]   // 
v_cmp_class_f32 s[54:55], v[vgprValuC+119], v10    // check NaN and +/-INF
v_med3_f32 v7, v[vgprValuC+119], v8, v9            // Clipping f32 value if exceeds the limit
v_cndmask_b32 v7, v7, v[vgprValuC+119], s[54:55]   // 
v_cvt_pk_bf8_f32  v116, v6, v7 op_sel:[0,0,1]      // convert two f32 accumulated values to fp8 and save it to hi_16[16:31]
s_mul_i32 s54, s[sgprStrideD1J], 13                // scale StrideD *= numRows(13) * bpe
s_add_u32  s[sgprSrdD+0], s[sgprSrdD+0], s54       // incToNextRow: gra SRD += inc(lower)
s_addc_u32  s[sgprSrdD+1], s[sgprSrdD+1], 0        // incToNextRow: gra SRD += inc(upper)
_buffer_store_b32 v116, v11, s[sgprSrdD:sgprSrdD+3], 0, offen, offset:0,  sc0 sc1 // store D

s_waitcnt vmcnt(45)                                // wait C (interleaved) 45 = 46 - 21 + 21 - 1
V_cvt_pk_f32_bf8 v[6:7], v110    // convert two f8 in lo_16 to f32
_v_mac_f32 v[vgprValuC+120], v6, s[sgprBeta]       // finalSum = sum*alpha + C*beta
_v_mac_f32 v[vgprValuC+121], v7, s[sgprBeta]       // finalSum = sum*alpha + C*beta
V_cvt_pk_f32_bf8 v[6:7], v110  src0_sel:WORD_1  // convert two f8 in hi_16 to f32
_v_mac_f32 v[vgprValuC+122], v6, s[sgprBeta]       // finalSum = sum*alpha + C*beta
_v_mac_f32 v[vgprValuC+123], v7, s[sgprBeta]       // finalSum = sum*alpha + C*beta
v_cmp_class_f32 s[54:55], v[vgprValuC+120], v10    // check NaN and +/-INF
v_med3_f32 v6, v[vgprValuC+120], v8, v9            // Clipping f32 value if exceeds the limit
v_cndmask_b32 v6, v6, v[vgprValuC+120], s[54:55]   // 
v_cmp_class_f32 s[54:55], v[vgprValuC+121], v10    // check NaN and +/-INF
v_med3_f32 v7, v[vgprValuC+121], v8, v9            // Clipping f32 value if exceeds the limit
v_cndmask_b32 v7, v7, v[vgprValuC+121], s[54:55]   // 
v_cvt_pk_bf8_f32  v120, v6, v7 op_sel:[0,0,0]      // convert two f32 accumulated values to fp8 and save it to lo_16[0:15]
v_cmp_class_f32 s[54:55], v[vgprValuC+122], v10    // check NaN and +/-INF
v_med3_f32 v6, v[vgprValuC+122], v8, v9            // Clipping f32 value if exceeds the limit
v_cndmask_b32 v6, v6, v[vgprValuC+122], s[54:55]   // 
v_cmp_class_f32 s[54:55], v[vgprValuC+123], v10    // check NaN and +/-INF
v_med3_f32 v7, v[vgprValuC+123], v8, v9            // Clipping f32 value if exceeds the limit
v_cndmask_b32 v7, v7, v[vgprValuC+123], s[54:55]   // 
v_cvt_pk_bf8_f32  v120, v6, v7 op_sel:[0,0,1]      // convert two f32 accumulated values to fp8 and save it to hi_16[16:31]
s_lshl_b32  s54, s[sgprStrideD1J], 0               // incToNextRow: Scale by BPE
s_add_u32  s[sgprSrdD+0], s[sgprSrdD+0], s54       // incToNextRow: gra SRD += inc(lower)
s_addc_u32  s[sgprSrdD+1], s[sgprSrdD+1], 0        // incToNextRow: gra SRD += inc(upper)
_buffer_store_b32 v120, v11, s[sgprSrdD:sgprSrdD+3], 0, offen, offset:0,  sc0 sc1 // store D

s_waitcnt vmcnt(45)                                // wait C (interleaved) 45 = 46 - 22 + 22 - 1
V_cvt_pk_f32_bf8 v[6:7], v111    // convert two f8 in lo_16 to f32
_v_mac_f32 v[vgprValuC+128], v6, s[sgprBeta]       // finalSum = sum*alpha + C*beta
_v_mac_f32 v[vgprValuC+129], v7, s[sgprBeta]       // finalSum = sum*alpha + C*beta
V_cvt_pk_f32_bf8 v[6:7], v111  src0_sel:WORD_1  // convert two f8 in hi_16 to f32
_v_mac_f32 v[vgprValuC+130], v6, s[sgprBeta]       // finalSum = sum*alpha + C*beta
_v_mac_f32 v[vgprValuC+131], v7, s[sgprBeta]       // finalSum = sum*alpha + C*beta
v_cmp_class_f32 s[54:55], v[vgprValuC+128], v10    // check NaN and +/-INF
v_med3_f32 v6, v[vgprValuC+128], v8, v9            // Clipping f32 value if exceeds the limit
v_cndmask_b32 v6, v6, v[vgprValuC+128], s[54:55]   // 
v_cmp_class_f32 s[54:55], v[vgprValuC+129], v10    // check NaN and +/-INF
v_med3_f32 v7, v[vgprValuC+129], v8, v9            // Clipping f32 value if exceeds the limit
v_cndmask_b32 v7, v7, v[vgprValuC+129], s[54:55]   // 
v_cvt_pk_bf8_f32  v128, v6, v7 op_sel:[0,0,0]      // convert two f32 accumulated values to fp8 and save it to lo_16[0:15]
v_cmp_class_f32 s[54:55], v[vgprValuC+130], v10    // check NaN and +/-INF
v_med3_f32 v6, v[vgprValuC+130], v8, v9            // Clipping f32 value if exceeds the limit
v_cndmask_b32 v6, v6, v[vgprValuC+130], s[54:55]   // 
v_cmp_class_f32 s[54:55], v[vgprValuC+131], v10    // check NaN and +/-INF
v_med3_f32 v7, v[vgprValuC+131], v8, v9            // Clipping f32 value if exceeds the limit
v_cndmask_b32 v7, v7, v[vgprValuC+131], s[54:55]   // 
v_cvt_pk_bf8_f32  v128, v6, v7 op_sel:[0,0,1]      // convert two f32 accumulated values to fp8 and save it to hi_16[16:31]
s_lshl_b32  s54, s[sgprStrideD1J], 0               // incToNextRow: Scale by BPE
	;; [unrolled: 26-line block ×3, first 2 shown]
s_add_u32  s[sgprSrdD+0], s[sgprSrdD+0], s54       // incToNextRow: gra SRD += inc(lower)
s_addc_u32  s[sgprSrdD+1], s[sgprSrdD+1], 0        // incToNextRow: gra SRD += inc(upper)
_buffer_store_b32 v136, v11, s[sgprSrdD:sgprSrdD+3], 0, offen, offset:0,  sc0 sc1 // store D

s_waitcnt vmcnt(45)                                // wait C (interleaved) 45 = 46 - 24 + 24 - 1
V_cvt_pk_f32_bf8 v[6:7], v133    // convert two f8 in lo_16 to f32
_v_mac_f32 v[vgprValuC+140], v6, s[sgprBeta]       // finalSum = sum*alpha + C*beta
_v_mac_f32 v[vgprValuC+141], v7, s[sgprBeta]       // finalSum = sum*alpha + C*beta
V_cvt_pk_f32_bf8 v[6:7], v133  src0_sel:WORD_1  // convert two f8 in hi_16 to f32
_v_mac_f32 v[vgprValuC+142], v6, s[sgprBeta]       // finalSum = sum*alpha + C*beta
_v_mac_f32 v[vgprValuC+143], v7, s[sgprBeta]       // finalSum = sum*alpha + C*beta
v_cmp_class_f32 s[54:55], v[vgprValuC+140], v10    // check NaN and +/-INF
v_med3_f32 v6, v[vgprValuC+140], v8, v9            // Clipping f32 value if exceeds the limit
v_cndmask_b32 v6, v6, v[vgprValuC+140], s[54:55]   // 
v_cmp_class_f32 s[54:55], v[vgprValuC+141], v10    // check NaN and +/-INF
v_med3_f32 v7, v[vgprValuC+141], v8, v9            // Clipping f32 value if exceeds the limit
v_cndmask_b32 v7, v7, v[vgprValuC+141], s[54:55]   // 
v_cvt_pk_bf8_f32  v140, v6, v7 op_sel:[0,0,0]      // convert two f32 accumulated values to fp8 and save it to lo_16[0:15]
v_cmp_class_f32 s[54:55], v[vgprValuC+142], v10    // check NaN and +/-INF
v_med3_f32 v6, v[vgprValuC+142], v8, v9            // Clipping f32 value if exceeds the limit
v_cndmask_b32 v6, v6, v[vgprValuC+142], s[54:55]   // 
v_cmp_class_f32 s[54:55], v[vgprValuC+143], v10    // check NaN and +/-INF
v_med3_f32 v7, v[vgprValuC+143], v8, v9            // Clipping f32 value if exceeds the limit
v_cndmask_b32 v7, v7, v[vgprValuC+143], s[54:55]   // 
v_cvt_pk_bf8_f32  v140, v6, v7 op_sel:[0,0,1]      // convert two f32 accumulated values to fp8 and save it to hi_16[16:31]
s_mul_i32 s54, s[sgprStrideD1J], 13                // scale StrideD *= numRows(13) * bpe
s_add_u32  s[sgprSrdD+0], s[sgprSrdD+0], s54       // incToNextRow: gra SRD += inc(lower)
s_addc_u32  s[sgprSrdD+1], s[sgprSrdD+1], 0        // incToNextRow: gra SRD += inc(upper)
_buffer_store_b32 v140, v11, s[sgprSrdD:sgprSrdD+3], 0, offen, offset:0,  sc0 sc1 // store D

s_waitcnt vmcnt(45)                                // wait C (interleaved) 45 = 46 - 25 + 25 - 1
V_cvt_pk_f32_bf8 v[6:7], v134    // convert two f8 in lo_16 to f32
_v_mac_f32 v[vgprValuC+144], v6, s[sgprBeta]       // finalSum = sum*alpha + C*beta
_v_mac_f32 v[vgprValuC+145], v7, s[sgprBeta]       // finalSum = sum*alpha + C*beta
V_cvt_pk_f32_bf8 v[6:7], v134  src0_sel:WORD_1  // convert two f8 in hi_16 to f32
_v_mac_f32 v[vgprValuC+146], v6, s[sgprBeta]       // finalSum = sum*alpha + C*beta
_v_mac_f32 v[vgprValuC+147], v7, s[sgprBeta]       // finalSum = sum*alpha + C*beta
v_cmp_class_f32 s[54:55], v[vgprValuC+144], v10    // check NaN and +/-INF
v_med3_f32 v6, v[vgprValuC+144], v8, v9            // Clipping f32 value if exceeds the limit
v_cndmask_b32 v6, v6, v[vgprValuC+144], s[54:55]   // 
v_cmp_class_f32 s[54:55], v[vgprValuC+145], v10    // check NaN and +/-INF
v_med3_f32 v7, v[vgprValuC+145], v8, v9            // Clipping f32 value if exceeds the limit
v_cndmask_b32 v7, v7, v[vgprValuC+145], s[54:55]   // 
v_cvt_pk_bf8_f32  v144, v6, v7 op_sel:[0,0,0]      // convert two f32 accumulated values to fp8 and save it to lo_16[0:15]
v_cmp_class_f32 s[54:55], v[vgprValuC+146], v10    // check NaN and +/-INF
v_med3_f32 v6, v[vgprValuC+146], v8, v9            // Clipping f32 value if exceeds the limit
v_cndmask_b32 v6, v6, v[vgprValuC+146], s[54:55]   // 
v_cmp_class_f32 s[54:55], v[vgprValuC+147], v10    // check NaN and +/-INF
v_med3_f32 v7, v[vgprValuC+147], v8, v9            // Clipping f32 value if exceeds the limit
v_cndmask_b32 v7, v7, v[vgprValuC+147], s[54:55]   // 
v_cvt_pk_bf8_f32  v144, v6, v7 op_sel:[0,0,1]      // convert two f32 accumulated values to fp8 and save it to hi_16[16:31]
s_lshl_b32  s54, s[sgprStrideD1J], 0               // incToNextRow: Scale by BPE
s_add_u32  s[sgprSrdD+0], s[sgprSrdD+0], s54       // incToNextRow: gra SRD += inc(lower)
s_addc_u32  s[sgprSrdD+1], s[sgprSrdD+1], 0        // incToNextRow: gra SRD += inc(upper)
_buffer_store_b32 v144, v11, s[sgprSrdD:sgprSrdD+3], 0, offen, offset:0,  sc0 sc1 // store D

s_waitcnt vmcnt(45)                                // wait C (interleaved) 45 = 46 - 26 + 26 - 1
V_cvt_pk_f32_bf8 v[6:7], v135    // convert two f8 in lo_16 to f32
_v_mac_f32 v[vgprValuC+148], v6, s[sgprBeta]       // finalSum = sum*alpha + C*beta
_v_mac_f32 v[vgprValuC+149], v7, s[sgprBeta]       // finalSum = sum*alpha + C*beta
V_cvt_pk_f32_bf8 v[6:7], v135  src0_sel:WORD_1  // convert two f8 in hi_16 to f32
_v_mac_f32 v[vgprValuC+150], v6, s[sgprBeta]       // finalSum = sum*alpha + C*beta
_v_mac_f32 v[vgprValuC+151], v7, s[sgprBeta]       // finalSum = sum*alpha + C*beta
v_cmp_class_f32 s[54:55], v[vgprValuC+148], v10    // check NaN and +/-INF
v_med3_f32 v6, v[vgprValuC+148], v8, v9            // Clipping f32 value if exceeds the limit
v_cndmask_b32 v6, v6, v[vgprValuC+148], s[54:55]   // 
v_cmp_class_f32 s[54:55], v[vgprValuC+149], v10    // check NaN and +/-INF
v_med3_f32 v7, v[vgprValuC+149], v8, v9            // Clipping f32 value if exceeds the limit
v_cndmask_b32 v7, v7, v[vgprValuC+149], s[54:55]   // 
v_cvt_pk_bf8_f32  v148, v6, v7 op_sel:[0,0,0]      // convert two f32 accumulated values to fp8 and save it to lo_16[0:15]
v_cmp_class_f32 s[54:55], v[vgprValuC+150], v10    // check NaN and +/-INF
v_med3_f32 v6, v[vgprValuC+150], v8, v9            // Clipping f32 value if exceeds the limit
v_cndmask_b32 v6, v6, v[vgprValuC+150], s[54:55]   // 
v_cmp_class_f32 s[54:55], v[vgprValuC+151], v10    // check NaN and +/-INF
v_med3_f32 v7, v[vgprValuC+151], v8, v9            // Clipping f32 value if exceeds the limit
v_cndmask_b32 v7, v7, v[vgprValuC+151], s[54:55]   // 
v_cvt_pk_bf8_f32  v148, v6, v7 op_sel:[0,0,1]      // convert two f32 accumulated values to fp8 and save it to hi_16[16:31]
s_lshl_b32  s54, s[sgprStrideD1J], 0               // incToNextRow: Scale by BPE
	;; [unrolled: 26-line block ×3, first 2 shown]
s_add_u32  s[sgprSrdD+0], s[sgprSrdD+0], s54       // incToNextRow: gra SRD += inc(lower)
s_addc_u32  s[sgprSrdD+1], s[sgprSrdD+1], 0        // incToNextRow: gra SRD += inc(upper)
_buffer_store_b32 v156, v11, s[sgprSrdD:sgprSrdD+3], 0, offen, offset:0,  sc0 sc1 // store D

s_waitcnt vmcnt(45)                                // wait C (interleaved) 45 = 46 - 28 + 28 - 1
V_cvt_pk_f32_bf8 v[6:7], v153    // convert two f8 in lo_16 to f32
_v_mac_f32 v[vgprValuC+160], v6, s[sgprBeta]       // finalSum = sum*alpha + C*beta
_v_mac_f32 v[vgprValuC+161], v7, s[sgprBeta]       // finalSum = sum*alpha + C*beta
V_cvt_pk_f32_bf8 v[6:7], v153  src0_sel:WORD_1  // convert two f8 in hi_16 to f32
_v_mac_f32 v[vgprValuC+162], v6, s[sgprBeta]       // finalSum = sum*alpha + C*beta
_v_mac_f32 v[vgprValuC+163], v7, s[sgprBeta]       // finalSum = sum*alpha + C*beta
v_cmp_class_f32 s[54:55], v[vgprValuC+160], v10    // check NaN and +/-INF
v_med3_f32 v6, v[vgprValuC+160], v8, v9            // Clipping f32 value if exceeds the limit
v_cndmask_b32 v6, v6, v[vgprValuC+160], s[54:55]   // 
v_cmp_class_f32 s[54:55], v[vgprValuC+161], v10    // check NaN and +/-INF
v_med3_f32 v7, v[vgprValuC+161], v8, v9            // Clipping f32 value if exceeds the limit
v_cndmask_b32 v7, v7, v[vgprValuC+161], s[54:55]   // 
v_cvt_pk_bf8_f32  v160, v6, v7 op_sel:[0,0,0]      // convert two f32 accumulated values to fp8 and save it to lo_16[0:15]
v_cmp_class_f32 s[54:55], v[vgprValuC+162], v10    // check NaN and +/-INF
v_med3_f32 v6, v[vgprValuC+162], v8, v9            // Clipping f32 value if exceeds the limit
v_cndmask_b32 v6, v6, v[vgprValuC+162], s[54:55]   // 
v_cmp_class_f32 s[54:55], v[vgprValuC+163], v10    // check NaN and +/-INF
v_med3_f32 v7, v[vgprValuC+163], v8, v9            // Clipping f32 value if exceeds the limit
v_cndmask_b32 v7, v7, v[vgprValuC+163], s[54:55]   // 
v_cvt_pk_bf8_f32  v160, v6, v7 op_sel:[0,0,1]      // convert two f32 accumulated values to fp8 and save it to hi_16[16:31]
s_mul_i32 s54, s[sgprStrideD1J], 13                // scale StrideD *= numRows(13) * bpe
s_add_u32  s[sgprSrdD+0], s[sgprSrdD+0], s54       // incToNextRow: gra SRD += inc(lower)
s_addc_u32  s[sgprSrdD+1], s[sgprSrdD+1], 0        // incToNextRow: gra SRD += inc(upper)
_buffer_store_b32 v160, v11, s[sgprSrdD:sgprSrdD+3], 0, offen, offset:0,  sc0 sc1 // store D

s_waitcnt vmcnt(45)                                // wait C (interleaved) 45 = 46 - 29 + 29 - 1
V_cvt_pk_f32_bf8 v[6:7], v154    // convert two f8 in lo_16 to f32
_v_mac_f32 v[vgprValuC+164], v6, s[sgprBeta]       // finalSum = sum*alpha + C*beta
_v_mac_f32 v[vgprValuC+165], v7, s[sgprBeta]       // finalSum = sum*alpha + C*beta
V_cvt_pk_f32_bf8 v[6:7], v154  src0_sel:WORD_1  // convert two f8 in hi_16 to f32
_v_mac_f32 v[vgprValuC+166], v6, s[sgprBeta]       // finalSum = sum*alpha + C*beta
_v_mac_f32 v[vgprValuC+167], v7, s[sgprBeta]       // finalSum = sum*alpha + C*beta
v_cmp_class_f32 s[54:55], v[vgprValuC+164], v10    // check NaN and +/-INF
v_med3_f32 v6, v[vgprValuC+164], v8, v9            // Clipping f32 value if exceeds the limit
v_cndmask_b32 v6, v6, v[vgprValuC+164], s[54:55]   // 
v_cmp_class_f32 s[54:55], v[vgprValuC+165], v10    // check NaN and +/-INF
v_med3_f32 v7, v[vgprValuC+165], v8, v9            // Clipping f32 value if exceeds the limit
v_cndmask_b32 v7, v7, v[vgprValuC+165], s[54:55]   // 
v_cvt_pk_bf8_f32  v164, v6, v7 op_sel:[0,0,0]      // convert two f32 accumulated values to fp8 and save it to lo_16[0:15]
v_cmp_class_f32 s[54:55], v[vgprValuC+166], v10    // check NaN and +/-INF
v_med3_f32 v6, v[vgprValuC+166], v8, v9            // Clipping f32 value if exceeds the limit
v_cndmask_b32 v6, v6, v[vgprValuC+166], s[54:55]   // 
v_cmp_class_f32 s[54:55], v[vgprValuC+167], v10    // check NaN and +/-INF
v_med3_f32 v7, v[vgprValuC+167], v8, v9            // Clipping f32 value if exceeds the limit
v_cndmask_b32 v7, v7, v[vgprValuC+167], s[54:55]   // 
v_cvt_pk_bf8_f32  v164, v6, v7 op_sel:[0,0,1]      // convert two f32 accumulated values to fp8 and save it to hi_16[16:31]
s_lshl_b32  s54, s[sgprStrideD1J], 0               // incToNextRow: Scale by BPE
s_add_u32  s[sgprSrdD+0], s[sgprSrdD+0], s54       // incToNextRow: gra SRD += inc(lower)
s_addc_u32  s[sgprSrdD+1], s[sgprSrdD+1], 0        // incToNextRow: gra SRD += inc(upper)
_buffer_store_b32 v164, v11, s[sgprSrdD:sgprSrdD+3], 0, offen, offset:0,  sc0 sc1 // store D

s_waitcnt vmcnt(45)                                // wait C (interleaved) 45 = 46 - 30 + 30 - 1
V_cvt_pk_f32_bf8 v[6:7], v155    // convert two f8 in lo_16 to f32
_v_mac_f32 v[vgprValuC+168], v6, s[sgprBeta]       // finalSum = sum*alpha + C*beta
_v_mac_f32 v[vgprValuC+169], v7, s[sgprBeta]       // finalSum = sum*alpha + C*beta
V_cvt_pk_f32_bf8 v[6:7], v155  src0_sel:WORD_1  // convert two f8 in hi_16 to f32
_v_mac_f32 v[vgprValuC+170], v6, s[sgprBeta]       // finalSum = sum*alpha + C*beta
_v_mac_f32 v[vgprValuC+171], v7, s[sgprBeta]       // finalSum = sum*alpha + C*beta
v_cmp_class_f32 s[54:55], v[vgprValuC+168], v10    // check NaN and +/-INF
v_med3_f32 v6, v[vgprValuC+168], v8, v9            // Clipping f32 value if exceeds the limit
v_cndmask_b32 v6, v6, v[vgprValuC+168], s[54:55]   // 
v_cmp_class_f32 s[54:55], v[vgprValuC+169], v10    // check NaN and +/-INF
v_med3_f32 v7, v[vgprValuC+169], v8, v9            // Clipping f32 value if exceeds the limit
v_cndmask_b32 v7, v7, v[vgprValuC+169], s[54:55]   // 
v_cvt_pk_bf8_f32  v168, v6, v7 op_sel:[0,0,0]      // convert two f32 accumulated values to fp8 and save it to lo_16[0:15]
v_cmp_class_f32 s[54:55], v[vgprValuC+170], v10    // check NaN and +/-INF
v_med3_f32 v6, v[vgprValuC+170], v8, v9            // Clipping f32 value if exceeds the limit
v_cndmask_b32 v6, v6, v[vgprValuC+170], s[54:55]   // 
v_cmp_class_f32 s[54:55], v[vgprValuC+171], v10    // check NaN and +/-INF
v_med3_f32 v7, v[vgprValuC+171], v8, v9            // Clipping f32 value if exceeds the limit
v_cndmask_b32 v7, v7, v[vgprValuC+171], s[54:55]   // 
v_cvt_pk_bf8_f32  v168, v6, v7 op_sel:[0,0,1]      // convert two f32 accumulated values to fp8 and save it to hi_16[16:31]
s_lshl_b32  s54, s[sgprStrideD1J], 0               // incToNextRow: Scale by BPE
	;; [unrolled: 26-line block ×3, first 2 shown]
s_add_u32  s[sgprSrdD+0], s[sgprSrdD+0], s54       // incToNextRow: gra SRD += inc(lower)
s_addc_u32  s[sgprSrdD+1], s[sgprSrdD+1], 0        // incToNextRow: gra SRD += inc(upper)
_buffer_store_b32 v176, v11, s[sgprSrdD:sgprSrdD+3], 0, offen, offset:0,  sc0 sc1 // store D

s_waitcnt vmcnt(45)                                // wait C (interleaved) 45 = 46 - 32 + 32 - 1
V_cvt_pk_f32_bf8 v[6:7], v173    // convert two f8 in lo_16 to f32
_v_mac_f32 v[vgprValuC+180], v6, s[sgprBeta]       // finalSum = sum*alpha + C*beta
_v_mac_f32 v[vgprValuC+181], v7, s[sgprBeta]       // finalSum = sum*alpha + C*beta
V_cvt_pk_f32_bf8 v[6:7], v173  src0_sel:WORD_1  // convert two f8 in hi_16 to f32
_v_mac_f32 v[vgprValuC+182], v6, s[sgprBeta]       // finalSum = sum*alpha + C*beta
_v_mac_f32 v[vgprValuC+183], v7, s[sgprBeta]       // finalSum = sum*alpha + C*beta
v_cmp_class_f32 s[54:55], v[vgprValuC+180], v10    // check NaN and +/-INF
v_med3_f32 v6, v[vgprValuC+180], v8, v9            // Clipping f32 value if exceeds the limit
v_cndmask_b32 v6, v6, v[vgprValuC+180], s[54:55]   // 
v_cmp_class_f32 s[54:55], v[vgprValuC+181], v10    // check NaN and +/-INF
v_med3_f32 v7, v[vgprValuC+181], v8, v9            // Clipping f32 value if exceeds the limit
v_cndmask_b32 v7, v7, v[vgprValuC+181], s[54:55]   // 
v_cvt_pk_bf8_f32  v180, v6, v7 op_sel:[0,0,0]      // convert two f32 accumulated values to fp8 and save it to lo_16[0:15]
v_cmp_class_f32 s[54:55], v[vgprValuC+182], v10    // check NaN and +/-INF
v_med3_f32 v6, v[vgprValuC+182], v8, v9            // Clipping f32 value if exceeds the limit
v_cndmask_b32 v6, v6, v[vgprValuC+182], s[54:55]   // 
v_cmp_class_f32 s[54:55], v[vgprValuC+183], v10    // check NaN and +/-INF
v_med3_f32 v7, v[vgprValuC+183], v8, v9            // Clipping f32 value if exceeds the limit
v_cndmask_b32 v7, v7, v[vgprValuC+183], s[54:55]   // 
v_cvt_pk_bf8_f32  v180, v6, v7 op_sel:[0,0,1]      // convert two f32 accumulated values to fp8 and save it to hi_16[16:31]
s_mul_i32 s54, s[sgprStrideD1J], 13                // scale StrideD *= numRows(13) * bpe
s_add_u32  s[sgprSrdD+0], s[sgprSrdD+0], s54       // incToNextRow: gra SRD += inc(lower)
s_addc_u32  s[sgprSrdD+1], s[sgprSrdD+1], 0        // incToNextRow: gra SRD += inc(upper)
_buffer_store_b32 v180, v11, s[sgprSrdD:sgprSrdD+3], 0, offen, offset:0,  sc0 sc1 // store D

s_waitcnt vmcnt(45)                                // wait C (interleaved) 45 = 46 - 33 + 33 - 1
V_cvt_pk_f32_bf8 v[6:7], v174    // convert two f8 in lo_16 to f32
_v_mac_f32 v[vgprValuC+184], v6, s[sgprBeta]       // finalSum = sum*alpha + C*beta
_v_mac_f32 v[vgprValuC+185], v7, s[sgprBeta]       // finalSum = sum*alpha + C*beta
V_cvt_pk_f32_bf8 v[6:7], v174  src0_sel:WORD_1  // convert two f8 in hi_16 to f32
_v_mac_f32 v[vgprValuC+186], v6, s[sgprBeta]       // finalSum = sum*alpha + C*beta
_v_mac_f32 v[vgprValuC+187], v7, s[sgprBeta]       // finalSum = sum*alpha + C*beta
v_cmp_class_f32 s[54:55], v[vgprValuC+184], v10    // check NaN and +/-INF
v_med3_f32 v6, v[vgprValuC+184], v8, v9            // Clipping f32 value if exceeds the limit
v_cndmask_b32 v6, v6, v[vgprValuC+184], s[54:55]   // 
v_cmp_class_f32 s[54:55], v[vgprValuC+185], v10    // check NaN and +/-INF
v_med3_f32 v7, v[vgprValuC+185], v8, v9            // Clipping f32 value if exceeds the limit
v_cndmask_b32 v7, v7, v[vgprValuC+185], s[54:55]   // 
v_cvt_pk_bf8_f32  v184, v6, v7 op_sel:[0,0,0]      // convert two f32 accumulated values to fp8 and save it to lo_16[0:15]
v_cmp_class_f32 s[54:55], v[vgprValuC+186], v10    // check NaN and +/-INF
v_med3_f32 v6, v[vgprValuC+186], v8, v9            // Clipping f32 value if exceeds the limit
v_cndmask_b32 v6, v6, v[vgprValuC+186], s[54:55]   // 
v_cmp_class_f32 s[54:55], v[vgprValuC+187], v10    // check NaN and +/-INF
v_med3_f32 v7, v[vgprValuC+187], v8, v9            // Clipping f32 value if exceeds the limit
v_cndmask_b32 v7, v7, v[vgprValuC+187], s[54:55]   // 
v_cvt_pk_bf8_f32  v184, v6, v7 op_sel:[0,0,1]      // convert two f32 accumulated values to fp8 and save it to hi_16[16:31]
s_lshl_b32  s54, s[sgprStrideD1J], 0               // incToNextRow: Scale by BPE
s_add_u32  s[sgprSrdD+0], s[sgprSrdD+0], s54       // incToNextRow: gra SRD += inc(lower)
s_addc_u32  s[sgprSrdD+1], s[sgprSrdD+1], 0        // incToNextRow: gra SRD += inc(upper)
_buffer_store_b32 v184, v11, s[sgprSrdD:sgprSrdD+3], 0, offen, offset:0,  sc0 sc1 // store D

s_waitcnt vmcnt(45)                                // wait C (interleaved) 45 = 46 - 34 + 34 - 1
V_cvt_pk_f32_bf8 v[6:7], v175    // convert two f8 in lo_16 to f32
_v_mac_f32 v[vgprValuC+188], v6, s[sgprBeta]       // finalSum = sum*alpha + C*beta
_v_mac_f32 v[vgprValuC+189], v7, s[sgprBeta]       // finalSum = sum*alpha + C*beta
V_cvt_pk_f32_bf8 v[6:7], v175  src0_sel:WORD_1  // convert two f8 in hi_16 to f32
_v_mac_f32 v[vgprValuC+190], v6, s[sgprBeta]       // finalSum = sum*alpha + C*beta
_v_mac_f32 v[vgprValuC+191], v7, s[sgprBeta]       // finalSum = sum*alpha + C*beta
v_cmp_class_f32 s[54:55], v[vgprValuC+188], v10    // check NaN and +/-INF
v_med3_f32 v6, v[vgprValuC+188], v8, v9            // Clipping f32 value if exceeds the limit
v_cndmask_b32 v6, v6, v[vgprValuC+188], s[54:55]   // 
v_cmp_class_f32 s[54:55], v[vgprValuC+189], v10    // check NaN and +/-INF
v_med3_f32 v7, v[vgprValuC+189], v8, v9            // Clipping f32 value if exceeds the limit
v_cndmask_b32 v7, v7, v[vgprValuC+189], s[54:55]   // 
v_cvt_pk_bf8_f32  v188, v6, v7 op_sel:[0,0,0]      // convert two f32 accumulated values to fp8 and save it to lo_16[0:15]
v_cmp_class_f32 s[54:55], v[vgprValuC+190], v10    // check NaN and +/-INF
v_med3_f32 v6, v[vgprValuC+190], v8, v9            // Clipping f32 value if exceeds the limit
v_cndmask_b32 v6, v6, v[vgprValuC+190], s[54:55]   // 
v_cmp_class_f32 s[54:55], v[vgprValuC+191], v10    // check NaN and +/-INF
v_med3_f32 v7, v[vgprValuC+191], v8, v9            // Clipping f32 value if exceeds the limit
v_cndmask_b32 v7, v7, v[vgprValuC+191], s[54:55]   // 
v_cvt_pk_bf8_f32  v188, v6, v7 op_sel:[0,0,1]      // convert two f32 accumulated values to fp8 and save it to hi_16[16:31]
s_lshl_b32  s54, s[sgprStrideD1J], 0               // incToNextRow: Scale by BPE
	;; [unrolled: 26-line block ×3, first 2 shown]
s_add_u32  s[sgprSrdD+0], s[sgprSrdD+0], s54       // incToNextRow: gra SRD += inc(lower)
s_addc_u32  s[sgprSrdD+1], s[sgprSrdD+1], 0        // incToNextRow: gra SRD += inc(upper)
_buffer_store_b32 v196, v11, s[sgprSrdD:sgprSrdD+3], 0, offen, offset:0,  sc0 sc1 // store D

s_waitcnt vmcnt(45)                                // wait C (interleaved) 45 = 46 - 36 + 36 - 1
V_cvt_pk_f32_bf8 v[6:7], v193    // convert two f8 in lo_16 to f32
_v_mac_f32 v[vgprValuC+200], v6, s[sgprBeta]       // finalSum = sum*alpha + C*beta
_v_mac_f32 v[vgprValuC+201], v7, s[sgprBeta]       // finalSum = sum*alpha + C*beta
V_cvt_pk_f32_bf8 v[6:7], v193  src0_sel:WORD_1  // convert two f8 in hi_16 to f32
_v_mac_f32 v[vgprValuC+202], v6, s[sgprBeta]       // finalSum = sum*alpha + C*beta
_v_mac_f32 v[vgprValuC+203], v7, s[sgprBeta]       // finalSum = sum*alpha + C*beta
v_cmp_class_f32 s[54:55], v[vgprValuC+200], v10    // check NaN and +/-INF
v_med3_f32 v6, v[vgprValuC+200], v8, v9            // Clipping f32 value if exceeds the limit
v_cndmask_b32 v6, v6, v[vgprValuC+200], s[54:55]   // 
v_cmp_class_f32 s[54:55], v[vgprValuC+201], v10    // check NaN and +/-INF
v_med3_f32 v7, v[vgprValuC+201], v8, v9            // Clipping f32 value if exceeds the limit
v_cndmask_b32 v7, v7, v[vgprValuC+201], s[54:55]   // 
v_cvt_pk_bf8_f32  v200, v6, v7 op_sel:[0,0,0]      // convert two f32 accumulated values to fp8 and save it to lo_16[0:15]
v_cmp_class_f32 s[54:55], v[vgprValuC+202], v10    // check NaN and +/-INF
v_med3_f32 v6, v[vgprValuC+202], v8, v9            // Clipping f32 value if exceeds the limit
v_cndmask_b32 v6, v6, v[vgprValuC+202], s[54:55]   // 
v_cmp_class_f32 s[54:55], v[vgprValuC+203], v10    // check NaN and +/-INF
v_med3_f32 v7, v[vgprValuC+203], v8, v9            // Clipping f32 value if exceeds the limit
v_cndmask_b32 v7, v7, v[vgprValuC+203], s[54:55]   // 
v_cvt_pk_bf8_f32  v200, v6, v7 op_sel:[0,0,1]      // convert two f32 accumulated values to fp8 and save it to hi_16[16:31]
s_mul_i32 s54, s[sgprStrideD1J], 13                // scale StrideD *= numRows(13) * bpe
s_add_u32  s[sgprSrdD+0], s[sgprSrdD+0], s54       // incToNextRow: gra SRD += inc(lower)
s_addc_u32  s[sgprSrdD+1], s[sgprSrdD+1], 0        // incToNextRow: gra SRD += inc(upper)
_buffer_store_b32 v200, v11, s[sgprSrdD:sgprSrdD+3], 0, offen, offset:0,  sc0 sc1 // store D

s_waitcnt vmcnt(45)                                // wait C (interleaved) 45 = 46 - 37 + 37 - 1
V_cvt_pk_f32_bf8 v[6:7], v194    // convert two f8 in lo_16 to f32
_v_mac_f32 v[vgprValuC+204], v6, s[sgprBeta]       // finalSum = sum*alpha + C*beta
_v_mac_f32 v[vgprValuC+205], v7, s[sgprBeta]       // finalSum = sum*alpha + C*beta
V_cvt_pk_f32_bf8 v[6:7], v194  src0_sel:WORD_1  // convert two f8 in hi_16 to f32
_v_mac_f32 v[vgprValuC+206], v6, s[sgprBeta]       // finalSum = sum*alpha + C*beta
_v_mac_f32 v[vgprValuC+207], v7, s[sgprBeta]       // finalSum = sum*alpha + C*beta
v_cmp_class_f32 s[54:55], v[vgprValuC+204], v10    // check NaN and +/-INF
v_med3_f32 v6, v[vgprValuC+204], v8, v9            // Clipping f32 value if exceeds the limit
v_cndmask_b32 v6, v6, v[vgprValuC+204], s[54:55]   // 
v_cmp_class_f32 s[54:55], v[vgprValuC+205], v10    // check NaN and +/-INF
v_med3_f32 v7, v[vgprValuC+205], v8, v9            // Clipping f32 value if exceeds the limit
v_cndmask_b32 v7, v7, v[vgprValuC+205], s[54:55]   // 
v_cvt_pk_bf8_f32  v204, v6, v7 op_sel:[0,0,0]      // convert two f32 accumulated values to fp8 and save it to lo_16[0:15]
v_cmp_class_f32 s[54:55], v[vgprValuC+206], v10    // check NaN and +/-INF
v_med3_f32 v6, v[vgprValuC+206], v8, v9            // Clipping f32 value if exceeds the limit
v_cndmask_b32 v6, v6, v[vgprValuC+206], s[54:55]   // 
v_cmp_class_f32 s[54:55], v[vgprValuC+207], v10    // check NaN and +/-INF
v_med3_f32 v7, v[vgprValuC+207], v8, v9            // Clipping f32 value if exceeds the limit
v_cndmask_b32 v7, v7, v[vgprValuC+207], s[54:55]   // 
v_cvt_pk_bf8_f32  v204, v6, v7 op_sel:[0,0,1]      // convert two f32 accumulated values to fp8 and save it to hi_16[16:31]
s_lshl_b32  s54, s[sgprStrideD1J], 0               // incToNextRow: Scale by BPE
s_add_u32  s[sgprSrdD+0], s[sgprSrdD+0], s54       // incToNextRow: gra SRD += inc(lower)
s_addc_u32  s[sgprSrdD+1], s[sgprSrdD+1], 0        // incToNextRow: gra SRD += inc(upper)
_buffer_store_b32 v204, v11, s[sgprSrdD:sgprSrdD+3], 0, offen, offset:0,  sc0 sc1 // store D

s_waitcnt vmcnt(45)                                // wait C (interleaved) 45 = 46 - 38 + 38 - 1
V_cvt_pk_f32_bf8 v[6:7], v195    // convert two f8 in lo_16 to f32
_v_mac_f32 v[vgprValuC+208], v6, s[sgprBeta]       // finalSum = sum*alpha + C*beta
_v_mac_f32 v[vgprValuC+209], v7, s[sgprBeta]       // finalSum = sum*alpha + C*beta
V_cvt_pk_f32_bf8 v[6:7], v195  src0_sel:WORD_1  // convert two f8 in hi_16 to f32
_v_mac_f32 v[vgprValuC+210], v6, s[sgprBeta]       // finalSum = sum*alpha + C*beta
_v_mac_f32 v[vgprValuC+211], v7, s[sgprBeta]       // finalSum = sum*alpha + C*beta
v_cmp_class_f32 s[54:55], v[vgprValuC+208], v10    // check NaN and +/-INF
v_med3_f32 v6, v[vgprValuC+208], v8, v9            // Clipping f32 value if exceeds the limit
v_cndmask_b32 v6, v6, v[vgprValuC+208], s[54:55]   // 
v_cmp_class_f32 s[54:55], v[vgprValuC+209], v10    // check NaN and +/-INF
v_med3_f32 v7, v[vgprValuC+209], v8, v9            // Clipping f32 value if exceeds the limit
v_cndmask_b32 v7, v7, v[vgprValuC+209], s[54:55]   // 
v_cvt_pk_bf8_f32  v208, v6, v7 op_sel:[0,0,0]      // convert two f32 accumulated values to fp8 and save it to lo_16[0:15]
v_cmp_class_f32 s[54:55], v[vgprValuC+210], v10    // check NaN and +/-INF
v_med3_f32 v6, v[vgprValuC+210], v8, v9            // Clipping f32 value if exceeds the limit
v_cndmask_b32 v6, v6, v[vgprValuC+210], s[54:55]   // 
v_cmp_class_f32 s[54:55], v[vgprValuC+211], v10    // check NaN and +/-INF
v_med3_f32 v7, v[vgprValuC+211], v8, v9            // Clipping f32 value if exceeds the limit
v_cndmask_b32 v7, v7, v[vgprValuC+211], s[54:55]   // 
v_cvt_pk_bf8_f32  v208, v6, v7 op_sel:[0,0,1]      // convert two f32 accumulated values to fp8 and save it to hi_16[16:31]
s_lshl_b32  s54, s[sgprStrideD1J], 0               // incToNextRow: Scale by BPE
	;; [unrolled: 26-line block ×3, first 2 shown]
s_add_u32  s[sgprSrdD+0], s[sgprSrdD+0], s54       // incToNextRow: gra SRD += inc(lower)
s_addc_u32  s[sgprSrdD+1], s[sgprSrdD+1], 0        // incToNextRow: gra SRD += inc(upper)
_buffer_store_b32 v216, v11, s[sgprSrdD:sgprSrdD+3], 0, offen, offset:0,  sc0 sc1 // store D

s_waitcnt vmcnt(45)                                // wait C (interleaved) 45 = 46 - 40 + 40 - 1
V_cvt_pk_f32_bf8 v[6:7], v213    // convert two f8 in lo_16 to f32
_v_mac_f32 v[vgprValuC+220], v6, s[sgprBeta]       // finalSum = sum*alpha + C*beta
_v_mac_f32 v[vgprValuC+221], v7, s[sgprBeta]       // finalSum = sum*alpha + C*beta
V_cvt_pk_f32_bf8 v[6:7], v213  src0_sel:WORD_1  // convert two f8 in hi_16 to f32
_v_mac_f32 v[vgprValuC+222], v6, s[sgprBeta]       // finalSum = sum*alpha + C*beta
_v_mac_f32 v[vgprValuC+223], v7, s[sgprBeta]       // finalSum = sum*alpha + C*beta
v_cmp_class_f32 s[54:55], v[vgprValuC+220], v10    // check NaN and +/-INF
v_med3_f32 v6, v[vgprValuC+220], v8, v9            // Clipping f32 value if exceeds the limit
v_cndmask_b32 v6, v6, v[vgprValuC+220], s[54:55]   // 
v_cmp_class_f32 s[54:55], v[vgprValuC+221], v10    // check NaN and +/-INF
v_med3_f32 v7, v[vgprValuC+221], v8, v9            // Clipping f32 value if exceeds the limit
v_cndmask_b32 v7, v7, v[vgprValuC+221], s[54:55]   // 
v_cvt_pk_bf8_f32  v220, v6, v7 op_sel:[0,0,0]      // convert two f32 accumulated values to fp8 and save it to lo_16[0:15]
v_cmp_class_f32 s[54:55], v[vgprValuC+222], v10    // check NaN and +/-INF
v_med3_f32 v6, v[vgprValuC+222], v8, v9            // Clipping f32 value if exceeds the limit
v_cndmask_b32 v6, v6, v[vgprValuC+222], s[54:55]   // 
v_cmp_class_f32 s[54:55], v[vgprValuC+223], v10    // check NaN and +/-INF
v_med3_f32 v7, v[vgprValuC+223], v8, v9            // Clipping f32 value if exceeds the limit
v_cndmask_b32 v7, v7, v[vgprValuC+223], s[54:55]   // 
v_cvt_pk_bf8_f32  v220, v6, v7 op_sel:[0,0,1]      // convert two f32 accumulated values to fp8 and save it to hi_16[16:31]
s_mul_i32 s54, s[sgprStrideD1J], 13                // scale StrideD *= numRows(13) * bpe
s_add_u32  s[sgprSrdD+0], s[sgprSrdD+0], s54       // incToNextRow: gra SRD += inc(lower)
s_addc_u32  s[sgprSrdD+1], s[sgprSrdD+1], 0        // incToNextRow: gra SRD += inc(upper)
_buffer_store_b32 v220, v11, s[sgprSrdD:sgprSrdD+3], 0, offen, offset:0,  sc0 sc1 // store D

s_waitcnt vmcnt(45)                                // wait C (interleaved) 45 = 46 - 41 + 41 - 1
V_cvt_pk_f32_bf8 v[6:7], v214    // convert two f8 in lo_16 to f32
_v_mac_f32 v[vgprValuC+224], v6, s[sgprBeta]       // finalSum = sum*alpha + C*beta
_v_mac_f32 v[vgprValuC+225], v7, s[sgprBeta]       // finalSum = sum*alpha + C*beta
V_cvt_pk_f32_bf8 v[6:7], v214  src0_sel:WORD_1  // convert two f8 in hi_16 to f32
_v_mac_f32 v[vgprValuC+226], v6, s[sgprBeta]       // finalSum = sum*alpha + C*beta
_v_mac_f32 v[vgprValuC+227], v7, s[sgprBeta]       // finalSum = sum*alpha + C*beta
v_cmp_class_f32 s[54:55], v[vgprValuC+224], v10    // check NaN and +/-INF
v_med3_f32 v6, v[vgprValuC+224], v8, v9            // Clipping f32 value if exceeds the limit
v_cndmask_b32 v6, v6, v[vgprValuC+224], s[54:55]   // 
v_cmp_class_f32 s[54:55], v[vgprValuC+225], v10    // check NaN and +/-INF
v_med3_f32 v7, v[vgprValuC+225], v8, v9            // Clipping f32 value if exceeds the limit
v_cndmask_b32 v7, v7, v[vgprValuC+225], s[54:55]   // 
v_cvt_pk_bf8_f32  v224, v6, v7 op_sel:[0,0,0]      // convert two f32 accumulated values to fp8 and save it to lo_16[0:15]
v_cmp_class_f32 s[54:55], v[vgprValuC+226], v10    // check NaN and +/-INF
v_med3_f32 v6, v[vgprValuC+226], v8, v9            // Clipping f32 value if exceeds the limit
v_cndmask_b32 v6, v6, v[vgprValuC+226], s[54:55]   // 
v_cmp_class_f32 s[54:55], v[vgprValuC+227], v10    // check NaN and +/-INF
v_med3_f32 v7, v[vgprValuC+227], v8, v9            // Clipping f32 value if exceeds the limit
v_cndmask_b32 v7, v7, v[vgprValuC+227], s[54:55]   // 
v_cvt_pk_bf8_f32  v224, v6, v7 op_sel:[0,0,1]      // convert two f32 accumulated values to fp8 and save it to hi_16[16:31]
s_lshl_b32  s54, s[sgprStrideD1J], 0               // incToNextRow: Scale by BPE
s_add_u32  s[sgprSrdD+0], s[sgprSrdD+0], s54       // incToNextRow: gra SRD += inc(lower)
s_addc_u32  s[sgprSrdD+1], s[sgprSrdD+1], 0        // incToNextRow: gra SRD += inc(upper)
_buffer_store_b32 v224, v11, s[sgprSrdD:sgprSrdD+3], 0, offen, offset:0,  sc0 sc1 // store D

s_waitcnt vmcnt(45)                                // wait C (interleaved) 45 = 46 - 42 + 42 - 1
V_cvt_pk_f32_bf8 v[6:7], v215    // convert two f8 in lo_16 to f32
_v_mac_f32 v[vgprValuC+228], v6, s[sgprBeta]       // finalSum = sum*alpha + C*beta
_v_mac_f32 v[vgprValuC+229], v7, s[sgprBeta]       // finalSum = sum*alpha + C*beta
V_cvt_pk_f32_bf8 v[6:7], v215  src0_sel:WORD_1  // convert two f8 in hi_16 to f32
_v_mac_f32 v[vgprValuC+230], v6, s[sgprBeta]       // finalSum = sum*alpha + C*beta
_v_mac_f32 v[vgprValuC+231], v7, s[sgprBeta]       // finalSum = sum*alpha + C*beta
v_cmp_class_f32 s[54:55], v[vgprValuC+228], v10    // check NaN and +/-INF
v_med3_f32 v6, v[vgprValuC+228], v8, v9            // Clipping f32 value if exceeds the limit
v_cndmask_b32 v6, v6, v[vgprValuC+228], s[54:55]   // 
v_cmp_class_f32 s[54:55], v[vgprValuC+229], v10    // check NaN and +/-INF
v_med3_f32 v7, v[vgprValuC+229], v8, v9            // Clipping f32 value if exceeds the limit
v_cndmask_b32 v7, v7, v[vgprValuC+229], s[54:55]   // 
v_cvt_pk_bf8_f32  v228, v6, v7 op_sel:[0,0,0]      // convert two f32 accumulated values to fp8 and save it to lo_16[0:15]
v_cmp_class_f32 s[54:55], v[vgprValuC+230], v10    // check NaN and +/-INF
v_med3_f32 v6, v[vgprValuC+230], v8, v9            // Clipping f32 value if exceeds the limit
v_cndmask_b32 v6, v6, v[vgprValuC+230], s[54:55]   // 
v_cmp_class_f32 s[54:55], v[vgprValuC+231], v10    // check NaN and +/-INF
v_med3_f32 v7, v[vgprValuC+231], v8, v9            // Clipping f32 value if exceeds the limit
v_cndmask_b32 v7, v7, v[vgprValuC+231], s[54:55]   // 
v_cvt_pk_bf8_f32  v228, v6, v7 op_sel:[0,0,1]      // convert two f32 accumulated values to fp8 and save it to hi_16[16:31]
s_lshl_b32  s54, s[sgprStrideD1J], 0               // incToNextRow: Scale by BPE
	;; [unrolled: 26-line block ×3, first 2 shown]
s_add_u32  s[sgprSrdD+0], s[sgprSrdD+0], s54       // incToNextRow: gra SRD += inc(lower)
s_addc_u32  s[sgprSrdD+1], s[sgprSrdD+1], 0        // incToNextRow: gra SRD += inc(upper)
_buffer_store_b32 v236, v11, s[sgprSrdD:sgprSrdD+3], 0, offen, offset:0,  sc0 sc1 // store D

s_waitcnt vmcnt(45)                                // wait C (interleaved) 45 = 46 - 44 + 44 - 1
V_cvt_pk_f32_bf8 v[6:7], v233    // convert two f8 in lo_16 to f32
_v_mac_f32 v[vgprValuC+240], v6, s[sgprBeta]       // finalSum = sum*alpha + C*beta
_v_mac_f32 v[vgprValuC+241], v7, s[sgprBeta]       // finalSum = sum*alpha + C*beta
V_cvt_pk_f32_bf8 v[6:7], v233  src0_sel:WORD_1  // convert two f8 in hi_16 to f32
_v_mac_f32 v[vgprValuC+242], v6, s[sgprBeta]       // finalSum = sum*alpha + C*beta
_v_mac_f32 v[vgprValuC+243], v7, s[sgprBeta]       // finalSum = sum*alpha + C*beta
v_cmp_class_f32 s[54:55], v[vgprValuC+240], v10    // check NaN and +/-INF
v_med3_f32 v6, v[vgprValuC+240], v8, v9            // Clipping f32 value if exceeds the limit
v_cndmask_b32 v6, v6, v[vgprValuC+240], s[54:55]   // 
v_cmp_class_f32 s[54:55], v[vgprValuC+241], v10    // check NaN and +/-INF
v_med3_f32 v7, v[vgprValuC+241], v8, v9            // Clipping f32 value if exceeds the limit
v_cndmask_b32 v7, v7, v[vgprValuC+241], s[54:55]   // 
v_cvt_pk_bf8_f32  v240, v6, v7 op_sel:[0,0,0]      // convert two f32 accumulated values to fp8 and save it to lo_16[0:15]
v_cmp_class_f32 s[54:55], v[vgprValuC+242], v10    // check NaN and +/-INF
v_med3_f32 v6, v[vgprValuC+242], v8, v9            // Clipping f32 value if exceeds the limit
v_cndmask_b32 v6, v6, v[vgprValuC+242], s[54:55]   // 
v_cmp_class_f32 s[54:55], v[vgprValuC+243], v10    // check NaN and +/-INF
v_med3_f32 v7, v[vgprValuC+243], v8, v9            // Clipping f32 value if exceeds the limit
v_cndmask_b32 v7, v7, v[vgprValuC+243], s[54:55]   // 
v_cvt_pk_bf8_f32  v240, v6, v7 op_sel:[0,0,1]      // convert two f32 accumulated values to fp8 and save it to hi_16[16:31]
s_mul_i32 s54, s[sgprStrideD1J], 13                // scale StrideD *= numRows(13) * bpe
s_add_u32  s[sgprSrdD+0], s[sgprSrdD+0], s54       // incToNextRow: gra SRD += inc(lower)
s_addc_u32  s[sgprSrdD+1], s[sgprSrdD+1], 0        // incToNextRow: gra SRD += inc(upper)
_buffer_store_b32 v240, v11, s[sgprSrdD:sgprSrdD+3], 0, offen, offset:0,  sc0 sc1 // store D

s_waitcnt vmcnt(45)                                // wait C (interleaved) 45 = 46 - 45 + 45 - 1
V_cvt_pk_f32_bf8 v[6:7], v234    // convert two f8 in lo_16 to f32
_v_mac_f32 v[vgprValuC+244], v6, s[sgprBeta]       // finalSum = sum*alpha + C*beta
_v_mac_f32 v[vgprValuC+245], v7, s[sgprBeta]       // finalSum = sum*alpha + C*beta
V_cvt_pk_f32_bf8 v[6:7], v234  src0_sel:WORD_1  // convert two f8 in hi_16 to f32
_v_mac_f32 v[vgprValuC+246], v6, s[sgprBeta]       // finalSum = sum*alpha + C*beta
_v_mac_f32 v[vgprValuC+247], v7, s[sgprBeta]       // finalSum = sum*alpha + C*beta
v_cmp_class_f32 s[54:55], v[vgprValuC+244], v10    // check NaN and +/-INF
v_med3_f32 v6, v[vgprValuC+244], v8, v9            // Clipping f32 value if exceeds the limit
v_cndmask_b32 v6, v6, v[vgprValuC+244], s[54:55]   // 
v_cmp_class_f32 s[54:55], v[vgprValuC+245], v10    // check NaN and +/-INF
v_med3_f32 v7, v[vgprValuC+245], v8, v9            // Clipping f32 value if exceeds the limit
v_cndmask_b32 v7, v7, v[vgprValuC+245], s[54:55]   // 
v_cvt_pk_bf8_f32  v244, v6, v7 op_sel:[0,0,0]      // convert two f32 accumulated values to fp8 and save it to lo_16[0:15]
v_cmp_class_f32 s[54:55], v[vgprValuC+246], v10    // check NaN and +/-INF
v_med3_f32 v6, v[vgprValuC+246], v8, v9            // Clipping f32 value if exceeds the limit
v_cndmask_b32 v6, v6, v[vgprValuC+246], s[54:55]   // 
v_cmp_class_f32 s[54:55], v[vgprValuC+247], v10    // check NaN and +/-INF
v_med3_f32 v7, v[vgprValuC+247], v8, v9            // Clipping f32 value if exceeds the limit
v_cndmask_b32 v7, v7, v[vgprValuC+247], s[54:55]   // 
v_cvt_pk_bf8_f32  v244, v6, v7 op_sel:[0,0,1]      // convert two f32 accumulated values to fp8 and save it to hi_16[16:31]
s_lshl_b32  s54, s[sgprStrideD1J], 0               // incToNextRow: Scale by BPE
s_add_u32  s[sgprSrdD+0], s[sgprSrdD+0], s54       // incToNextRow: gra SRD += inc(lower)
s_addc_u32  s[sgprSrdD+1], s[sgprSrdD+1], 0        // incToNextRow: gra SRD += inc(upper)
_buffer_store_b32 v244, v11, s[sgprSrdD:sgprSrdD+3], 0, offen, offset:0,  sc0 sc1 // store D
s_nop 0                                            // 1 wait state required when next inst writes vgprs held by previous dwordx4 store inst
/* optSingleColVgpr=1 optSharedColVgpr=0 optSGPRUsage=BufferLoad_Mask optSrdIncForRow=1 */
s_sleep 3 // optimization: sync and wait
s_barrier

/******************************************/
/* Global Write Alpha Beta Batch #1 (d1,d0,vc1,vc0) = */
/*    (11,0,2,0:vw4); (11,0,3,0:vw4); (12,0,0,0:vw4); (12,0,1,0:vw4); (12,0,2,0:vw4); (12,0,3,0:vw4); (13,0,0,0:vw4); (13,0,1,0:vw4); (13,0,2,0:vw4); (13,0,3,0:vw4); (14,0,0,0:vw4); (14,0,1,0:vw4); (14,0,2,0:vw4); (14,0,3,0:vw4); (15,0,0,0:vw4); (15,0,1,0:vw4); (15,0,2,0:vw4); (15,0,3,0:vw4) */
/******************************************/

/* calc coords, apply mask, and issue loads (if necessary) */
/* (d1,vc1,d0,vc0)=(11,2,0,0) */
s_lshl_b32  s54, s[sgprStrideC1J], 0               // incToNextRow: Scale by BPE
s_add_u32  s[sgprSrdC+0], s[sgprSrdC+0], s54       // incToNextRow: gra SRD += inc(lower)
s_addc_u32  s[sgprSrdC+1], s[sgprSrdC+1], 0        // incToNextRow: gra SRD += inc(upper)
_buffer_load_b32 v13, v12, s[sgprSrdC:sgprSrdC+3], 0, offen offset:0,  sc0 sc1 // load C for beta calc
/* (d1,vc1,d0,vc0)=(11,3,0,0) */
s_lshl_b32  s54, s[sgprStrideC1J], 0               // incToNextRow: Scale by BPE
s_add_u32  s[sgprSrdC+0], s[sgprSrdC+0], s54       // incToNextRow: gra SRD += inc(lower)
s_addc_u32  s[sgprSrdC+1], s[sgprSrdC+1], 0        // incToNextRow: gra SRD += inc(upper)
_buffer_load_b32 v14, v12, s[sgprSrdC:sgprSrdC+3], 0, offen offset:0,  sc0 sc1 // load C for beta calc
/* (d1,vc1,d0,vc0)=(12,0,0,0) */
s_mul_i32 s54, s[sgprStrideC1J], 13                // scale StrideC *= numRows(13) * bpe
s_add_u32  s[sgprSrdC+0], s[sgprSrdC+0], s54       // incToNextRow: gra SRD += inc(lower)
s_addc_u32  s[sgprSrdC+1], s[sgprSrdC+1], 0        // incToNextRow: gra SRD += inc(upper)
_buffer_load_b32 v15, v12, s[sgprSrdC:sgprSrdC+3], 0, offen offset:0,  sc0 sc1 // load C for beta calc
/* (d1,vc1,d0,vc0)=(12,1,0,0) */
s_lshl_b32  s54, s[sgprStrideC1J], 0               // incToNextRow: Scale by BPE
s_add_u32  s[sgprSrdC+0], s[sgprSrdC+0], s54       // incToNextRow: gra SRD += inc(lower)
s_addc_u32  s[sgprSrdC+1], s[sgprSrdC+1], 0        // incToNextRow: gra SRD += inc(upper)
_buffer_load_b32 v28, v12, s[sgprSrdC:sgprSrdC+3], 0, offen offset:0,  sc0 sc1 // load C for beta calc
/* (d1,vc1,d0,vc0)=(12,2,0,0) */
s_lshl_b32  s54, s[sgprStrideC1J], 0               // incToNextRow: Scale by BPE
s_add_u32  s[sgprSrdC+0], s[sgprSrdC+0], s54       // incToNextRow: gra SRD += inc(lower)
s_addc_u32  s[sgprSrdC+1], s[sgprSrdC+1], 0        // incToNextRow: gra SRD += inc(upper)
_buffer_load_b32 v29, v12, s[sgprSrdC:sgprSrdC+3], 0, offen offset:0,  sc0 sc1 // load C for beta calc
/* (d1,vc1,d0,vc0)=(12,3,0,0) */
s_lshl_b32  s54, s[sgprStrideC1J], 0               // incToNextRow: Scale by BPE
s_add_u32  s[sgprSrdC+0], s[sgprSrdC+0], s54       // incToNextRow: gra SRD += inc(lower)
s_addc_u32  s[sgprSrdC+1], s[sgprSrdC+1], 0        // incToNextRow: gra SRD += inc(upper)
_buffer_load_b32 v30, v12, s[sgprSrdC:sgprSrdC+3], 0, offen offset:0,  sc0 sc1 // load C for beta calc
/* (d1,vc1,d0,vc0)=(13,0,0,0) */
s_mul_i32 s54, s[sgprStrideC1J], 13                // scale StrideC *= numRows(13) * bpe
s_add_u32  s[sgprSrdC+0], s[sgprSrdC+0], s54       // incToNextRow: gra SRD += inc(lower)
s_addc_u32  s[sgprSrdC+1], s[sgprSrdC+1], 0        // incToNextRow: gra SRD += inc(upper)
_buffer_load_b32 v31, v12, s[sgprSrdC:sgprSrdC+3], 0, offen offset:0,  sc0 sc1 // load C for beta calc
/* (d1,vc1,d0,vc0)=(13,1,0,0) */
s_lshl_b32  s54, s[sgprStrideC1J], 0               // incToNextRow: Scale by BPE
s_add_u32  s[sgprSrdC+0], s[sgprSrdC+0], s54       // incToNextRow: gra SRD += inc(lower)
s_addc_u32  s[sgprSrdC+1], s[sgprSrdC+1], 0        // incToNextRow: gra SRD += inc(upper)
_buffer_load_b32 v48, v12, s[sgprSrdC:sgprSrdC+3], 0, offen offset:0,  sc0 sc1 // load C for beta calc
	;; [unrolled: 20-line block ×4, first 2 shown]
/* (d1,vc1,d0,vc0)=(15,2,0,0) */
s_lshl_b32  s54, s[sgprStrideC1J], 0               // incToNextRow: Scale by BPE
s_add_u32  s[sgprSrdC+0], s[sgprSrdC+0], s54       // incToNextRow: gra SRD += inc(lower)
s_addc_u32  s[sgprSrdC+1], s[sgprSrdC+1], 0        // incToNextRow: gra SRD += inc(upper)
_buffer_load_b32 v89, v12, s[sgprSrdC:sgprSrdC+3], 0, offen offset:0,  sc0 sc1 // load C for beta calc
/* (d1,vc1,d0,vc0)=(15,3,0,0) */
s_lshl_b32  s54, s[sgprStrideC1J], 0               // incToNextRow: Scale by BPE
s_add_u32  s[sgprSrdC+0], s[sgprSrdC+0], s54       // incToNextRow: gra SRD += inc(lower)
s_addc_u32  s[sgprSrdC+1], s[sgprSrdC+1], 0        // incToNextRow: gra SRD += inc(upper)
_buffer_load_b32 v90, v12, s[sgprSrdC:sgprSrdC+3], 0, offen offset:0,  sc0 sc1 // load C for beta calc
s_sleep 3 // optimization: sync and wait
s_barrier
v_accvgpr_read_b32 v[vgprValuC+16], acc178 // copy acc to vreg[184]
v_accvgpr_read_b32 v[vgprValuC+17], acc182 // copy acc to vreg[185]
v_accvgpr_read_b32 v[vgprValuC+18], acc186 // copy acc to vreg[186]
v_accvgpr_read_b32 v[vgprValuC+19], acc190 // copy acc to vreg[187]
v_accvgpr_read_b32 v[vgprValuC+20], acc179 // copy acc to vreg[188]
v_accvgpr_read_b32 v[vgprValuC+21], acc183 // copy acc to vreg[189]
v_accvgpr_read_b32 v[vgprValuC+22], acc187 // copy acc to vreg[190]
v_accvgpr_read_b32 v[vgprValuC+23], acc191 // copy acc to vreg[191]
v_accvgpr_read_b32 v[vgprValuC+24], acc192 // copy acc to vreg[192]
v_accvgpr_read_b32 v[vgprValuC+25], acc196 // copy acc to vreg[193]
v_accvgpr_read_b32 v[vgprValuC+26], acc200 // copy acc to vreg[194]
v_accvgpr_read_b32 v[vgprValuC+27], acc204 // copy acc to vreg[195]
v_accvgpr_read_b32 v[vgprValuC+32], acc193 // copy acc to vreg[196]
v_accvgpr_read_b32 v[vgprValuC+33], acc197 // copy acc to vreg[197]
v_accvgpr_read_b32 v[vgprValuC+34], acc201 // copy acc to vreg[198]
v_accvgpr_read_b32 v[vgprValuC+35], acc205 // copy acc to vreg[199]
v_accvgpr_read_b32 v[vgprValuC+36], acc194 // copy acc to vreg[200]
v_accvgpr_read_b32 v[vgprValuC+37], acc198 // copy acc to vreg[201]
v_accvgpr_read_b32 v[vgprValuC+38], acc202 // copy acc to vreg[202]
v_accvgpr_read_b32 v[vgprValuC+39], acc206 // copy acc to vreg[203]
v_accvgpr_read_b32 v[vgprValuC+40], acc195 // copy acc to vreg[204]
v_accvgpr_read_b32 v[vgprValuC+41], acc199 // copy acc to vreg[205]
v_accvgpr_read_b32 v[vgprValuC+42], acc203 // copy acc to vreg[206]
v_accvgpr_read_b32 v[vgprValuC+43], acc207 // copy acc to vreg[207]
v_accvgpr_read_b32 v[vgprValuC+44], acc208 // copy acc to vreg[208]
v_accvgpr_read_b32 v[vgprValuC+45], acc212 // copy acc to vreg[209]
v_accvgpr_read_b32 v[vgprValuC+46], acc216 // copy acc to vreg[210]
v_accvgpr_read_b32 v[vgprValuC+47], acc220 // copy acc to vreg[211]
v_accvgpr_read_b32 v[vgprValuC+52], acc209 // copy acc to vreg[212]
v_accvgpr_read_b32 v[vgprValuC+53], acc213 // copy acc to vreg[213]
v_accvgpr_read_b32 v[vgprValuC+54], acc217 // copy acc to vreg[214]
v_accvgpr_read_b32 v[vgprValuC+55], acc221 // copy acc to vreg[215]
v_accvgpr_read_b32 v[vgprValuC+56], acc210 // copy acc to vreg[216]
v_accvgpr_read_b32 v[vgprValuC+57], acc214 // copy acc to vreg[217]
v_accvgpr_read_b32 v[vgprValuC+58], acc218 // copy acc to vreg[218]
v_accvgpr_read_b32 v[vgprValuC+59], acc222 // copy acc to vreg[219]
v_accvgpr_read_b32 v[vgprValuC+60], acc211 // copy acc to vreg[220]
v_accvgpr_read_b32 v[vgprValuC+61], acc215 // copy acc to vreg[221]
v_accvgpr_read_b32 v[vgprValuC+62], acc219 // copy acc to vreg[222]
v_accvgpr_read_b32 v[vgprValuC+63], acc223 // copy acc to vreg[223]
v_accvgpr_read_b32 v[vgprValuC+64], acc224 // copy acc to vreg[224]
v_accvgpr_read_b32 v[vgprValuC+65], acc228 // copy acc to vreg[225]
v_accvgpr_read_b32 v[vgprValuC+66], acc232 // copy acc to vreg[226]
v_accvgpr_read_b32 v[vgprValuC+67], acc236 // copy acc to vreg[227]
v_accvgpr_read_b32 v[vgprValuC+72], acc225 // copy acc to vreg[228]
v_accvgpr_read_b32 v[vgprValuC+73], acc229 // copy acc to vreg[229]
v_accvgpr_read_b32 v[vgprValuC+74], acc233 // copy acc to vreg[230]
v_accvgpr_read_b32 v[vgprValuC+75], acc237 // copy acc to vreg[231]
v_accvgpr_read_b32 v[vgprValuC+76], acc226 // copy acc to vreg[232]
v_accvgpr_read_b32 v[vgprValuC+77], acc230 // copy acc to vreg[233]
v_accvgpr_read_b32 v[vgprValuC+78], acc234 // copy acc to vreg[234]
v_accvgpr_read_b32 v[vgprValuC+79], acc238 // copy acc to vreg[235]
v_accvgpr_read_b32 v[vgprValuC+80], acc227 // copy acc to vreg[236]
v_accvgpr_read_b32 v[vgprValuC+81], acc231 // copy acc to vreg[237]
v_accvgpr_read_b32 v[vgprValuC+82], acc235 // copy acc to vreg[238]
v_accvgpr_read_b32 v[vgprValuC+83], acc239 // copy acc to vreg[239]
v_accvgpr_read_b32 v[vgprValuC+84], acc240 // copy acc to vreg[240]
v_accvgpr_read_b32 v[vgprValuC+85], acc244 // copy acc to vreg[241]
v_accvgpr_read_b32 v[vgprValuC+86], acc248 // copy acc to vreg[242]
v_accvgpr_read_b32 v[vgprValuC+87], acc252 // copy acc to vreg[243]
v_accvgpr_read_b32 v[vgprValuC+92], acc241 // copy acc to vreg[244]
v_accvgpr_read_b32 v[vgprValuC+93], acc245 // copy acc to vreg[245]
v_accvgpr_read_b32 v[vgprValuC+94], acc249 // copy acc to vreg[246]
v_accvgpr_read_b32 v[vgprValuC+95], acc253 // copy acc to vreg[247]
v_accvgpr_read_b32 v[vgprValuC+96], acc242 // copy acc to vreg[248]
v_accvgpr_read_b32 v[vgprValuC+97], acc246 // copy acc to vreg[249]
v_accvgpr_read_b32 v[vgprValuC+98], acc250 // copy acc to vreg[250]
v_accvgpr_read_b32 v[vgprValuC+99], acc254 // copy acc to vreg[251]
v_accvgpr_read_b32 v[vgprValuC+100], acc243 // copy acc to vreg[252]
v_accvgpr_read_b32 v[vgprValuC+101], acc247 // copy acc to vreg[253]
v_accvgpr_read_b32 v[vgprValuC+102], acc251 // copy acc to vreg[254]
v_accvgpr_read_b32 v[vgprValuC+103], acc255 // copy acc to vreg[255]
s_nop 1                                            // 2 wait states required before reading vgpr

/* rC *= alpha batchElements=[(11, 0, 2, 0), (11, 0, 3, 0), (12, 0, 0, 0), (12, 0, 1, 0), (12, 0, 2, 0), (12, 0, 3, 0), (13, 0, 0, 0), (13, 0, 1, 0), (13, 0, 2, 0), (13, 0, 3, 0), (14, 0, 0, 0), (14, 0, 1, 0), (14, 0, 2, 0), (14, 0, 3, 0), (15, 0, 0, 0), (15, 0, 1, 0), (15, 0, 2, 0), (15, 0, 3, 0)] */
v_mul_f32 v[vgprValuC+16], s[sgprAlpha], v[vgprValuC+16] // *= alpha
v_mul_f32 v[vgprValuC+17], s[sgprAlpha], v[vgprValuC+17] // *= alpha
v_mul_f32 v[vgprValuC+18], s[sgprAlpha], v[vgprValuC+18] // *= alpha
v_mul_f32 v[vgprValuC+19], s[sgprAlpha], v[vgprValuC+19] // *= alpha
v_mul_f32 v[vgprValuC+20], s[sgprAlpha], v[vgprValuC+20] // *= alpha
v_mul_f32 v[vgprValuC+21], s[sgprAlpha], v[vgprValuC+21] // *= alpha
v_mul_f32 v[vgprValuC+22], s[sgprAlpha], v[vgprValuC+22] // *= alpha
v_mul_f32 v[vgprValuC+23], s[sgprAlpha], v[vgprValuC+23] // *= alpha
v_mul_f32 v[vgprValuC+24], s[sgprAlpha], v[vgprValuC+24] // *= alpha
v_mul_f32 v[vgprValuC+25], s[sgprAlpha], v[vgprValuC+25] // *= alpha
v_mul_f32 v[vgprValuC+26], s[sgprAlpha], v[vgprValuC+26] // *= alpha
v_mul_f32 v[vgprValuC+27], s[sgprAlpha], v[vgprValuC+27] // *= alpha
v_mul_f32 v[vgprValuC+32], s[sgprAlpha], v[vgprValuC+32] // *= alpha
v_mul_f32 v[vgprValuC+33], s[sgprAlpha], v[vgprValuC+33] // *= alpha
v_mul_f32 v[vgprValuC+34], s[sgprAlpha], v[vgprValuC+34] // *= alpha
v_mul_f32 v[vgprValuC+35], s[sgprAlpha], v[vgprValuC+35] // *= alpha
v_mul_f32 v[vgprValuC+36], s[sgprAlpha], v[vgprValuC+36] // *= alpha
v_mul_f32 v[vgprValuC+37], s[sgprAlpha], v[vgprValuC+37] // *= alpha
v_mul_f32 v[vgprValuC+38], s[sgprAlpha], v[vgprValuC+38] // *= alpha
v_mul_f32 v[vgprValuC+39], s[sgprAlpha], v[vgprValuC+39] // *= alpha
v_mul_f32 v[vgprValuC+40], s[sgprAlpha], v[vgprValuC+40] // *= alpha
v_mul_f32 v[vgprValuC+41], s[sgprAlpha], v[vgprValuC+41] // *= alpha
v_mul_f32 v[vgprValuC+42], s[sgprAlpha], v[vgprValuC+42] // *= alpha
v_mul_f32 v[vgprValuC+43], s[sgprAlpha], v[vgprValuC+43] // *= alpha
v_mul_f32 v[vgprValuC+44], s[sgprAlpha], v[vgprValuC+44] // *= alpha
v_mul_f32 v[vgprValuC+45], s[sgprAlpha], v[vgprValuC+45] // *= alpha
v_mul_f32 v[vgprValuC+46], s[sgprAlpha], v[vgprValuC+46] // *= alpha
v_mul_f32 v[vgprValuC+47], s[sgprAlpha], v[vgprValuC+47] // *= alpha
v_mul_f32 v[vgprValuC+52], s[sgprAlpha], v[vgprValuC+52] // *= alpha
v_mul_f32 v[vgprValuC+53], s[sgprAlpha], v[vgprValuC+53] // *= alpha
v_mul_f32 v[vgprValuC+54], s[sgprAlpha], v[vgprValuC+54] // *= alpha
v_mul_f32 v[vgprValuC+55], s[sgprAlpha], v[vgprValuC+55] // *= alpha
v_mul_f32 v[vgprValuC+56], s[sgprAlpha], v[vgprValuC+56] // *= alpha
v_mul_f32 v[vgprValuC+57], s[sgprAlpha], v[vgprValuC+57] // *= alpha
v_mul_f32 v[vgprValuC+58], s[sgprAlpha], v[vgprValuC+58] // *= alpha
v_mul_f32 v[vgprValuC+59], s[sgprAlpha], v[vgprValuC+59] // *= alpha
v_mul_f32 v[vgprValuC+60], s[sgprAlpha], v[vgprValuC+60] // *= alpha
v_mul_f32 v[vgprValuC+61], s[sgprAlpha], v[vgprValuC+61] // *= alpha
v_mul_f32 v[vgprValuC+62], s[sgprAlpha], v[vgprValuC+62] // *= alpha
v_mul_f32 v[vgprValuC+63], s[sgprAlpha], v[vgprValuC+63] // *= alpha
v_mul_f32 v[vgprValuC+64], s[sgprAlpha], v[vgprValuC+64] // *= alpha
v_mul_f32 v[vgprValuC+65], s[sgprAlpha], v[vgprValuC+65] // *= alpha
v_mul_f32 v[vgprValuC+66], s[sgprAlpha], v[vgprValuC+66] // *= alpha
v_mul_f32 v[vgprValuC+67], s[sgprAlpha], v[vgprValuC+67] // *= alpha
v_mul_f32 v[vgprValuC+72], s[sgprAlpha], v[vgprValuC+72] // *= alpha
v_mul_f32 v[vgprValuC+73], s[sgprAlpha], v[vgprValuC+73] // *= alpha
v_mul_f32 v[vgprValuC+74], s[sgprAlpha], v[vgprValuC+74] // *= alpha
v_mul_f32 v[vgprValuC+75], s[sgprAlpha], v[vgprValuC+75] // *= alpha
v_mul_f32 v[vgprValuC+76], s[sgprAlpha], v[vgprValuC+76] // *= alpha
v_mul_f32 v[vgprValuC+77], s[sgprAlpha], v[vgprValuC+77] // *= alpha
v_mul_f32 v[vgprValuC+78], s[sgprAlpha], v[vgprValuC+78] // *= alpha
v_mul_f32 v[vgprValuC+79], s[sgprAlpha], v[vgprValuC+79] // *= alpha
v_mul_f32 v[vgprValuC+80], s[sgprAlpha], v[vgprValuC+80] // *= alpha
v_mul_f32 v[vgprValuC+81], s[sgprAlpha], v[vgprValuC+81] // *= alpha
v_mul_f32 v[vgprValuC+82], s[sgprAlpha], v[vgprValuC+82] // *= alpha
v_mul_f32 v[vgprValuC+83], s[sgprAlpha], v[vgprValuC+83] // *= alpha
v_mul_f32 v[vgprValuC+84], s[sgprAlpha], v[vgprValuC+84] // *= alpha
v_mul_f32 v[vgprValuC+85], s[sgprAlpha], v[vgprValuC+85] // *= alpha
v_mul_f32 v[vgprValuC+86], s[sgprAlpha], v[vgprValuC+86] // *= alpha
v_mul_f32 v[vgprValuC+87], s[sgprAlpha], v[vgprValuC+87] // *= alpha
v_mul_f32 v[vgprValuC+92], s[sgprAlpha], v[vgprValuC+92] // *= alpha
v_mul_f32 v[vgprValuC+93], s[sgprAlpha], v[vgprValuC+93] // *= alpha
v_mul_f32 v[vgprValuC+94], s[sgprAlpha], v[vgprValuC+94] // *= alpha
v_mul_f32 v[vgprValuC+95], s[sgprAlpha], v[vgprValuC+95] // *= alpha
v_mul_f32 v[vgprValuC+96], s[sgprAlpha], v[vgprValuC+96] // *= alpha
v_mul_f32 v[vgprValuC+97], s[sgprAlpha], v[vgprValuC+97] // *= alpha
v_mul_f32 v[vgprValuC+98], s[sgprAlpha], v[vgprValuC+98] // *= alpha
v_mul_f32 v[vgprValuC+99], s[sgprAlpha], v[vgprValuC+99] // *= alpha
v_mul_f32 v[vgprValuC+100], s[sgprAlpha], v[vgprValuC+100] // *= alpha
v_mul_f32 v[vgprValuC+101], s[sgprAlpha], v[vgprValuC+101] // *= alpha
v_mul_f32 v[vgprValuC+102], s[sgprAlpha], v[vgprValuC+102] // *= alpha
v_mul_f32 v[vgprValuC+103], s[sgprAlpha], v[vgprValuC+103] // *= alpha

/* apply mask, calc new C and issue writes */
v_mov_b32 v10, 0x207                               // flag for Nan and +/- inf
v_mov_b32 v8, 0x47600000                           // save 57344.0f as max for clipping
v_mov_b32 v9, 0xC7600000                           // save -57344`.0f as min for clipping

s_waitcnt vmcnt(17)                                // wait C (interleaved) 17 = 18 - 0 + 0 - 1
V_cvt_pk_f32_bf8 v[6:7], v13    // convert two f8 in lo_16 to f32
_v_mac_f32 v[vgprValuC+16], v6, s[sgprBeta]        // finalSum = sum*alpha + C*beta
_v_mac_f32 v[vgprValuC+17], v7, s[sgprBeta]        // finalSum = sum*alpha + C*beta
V_cvt_pk_f32_bf8 v[6:7], v13  src0_sel:WORD_1  // convert two f8 in hi_16 to f32
_v_mac_f32 v[vgprValuC+18], v6, s[sgprBeta]        // finalSum = sum*alpha + C*beta
_v_mac_f32 v[vgprValuC+19], v7, s[sgprBeta]        // finalSum = sum*alpha + C*beta
v_cmp_class_f32 s[54:55], v[vgprValuC+16], v10     // check NaN and +/-INF
v_med3_f32 v6, v[vgprValuC+16], v8, v9             // Clipping f32 value if exceeds the limit
v_cndmask_b32 v6, v6, v[vgprValuC+16], s[54:55]    // 
v_cmp_class_f32 s[54:55], v[vgprValuC+17], v10     // check NaN and +/-INF
v_med3_f32 v7, v[vgprValuC+17], v8, v9             // Clipping f32 value if exceeds the limit
v_cndmask_b32 v7, v7, v[vgprValuC+17], s[54:55]    // 
v_cvt_pk_bf8_f32  v16, v6, v7 op_sel:[0,0,0]       // convert two f32 accumulated values to fp8 and save it to lo_16[0:15]
v_cmp_class_f32 s[54:55], v[vgprValuC+18], v10     // check NaN and +/-INF
v_med3_f32 v6, v[vgprValuC+18], v8, v9             // Clipping f32 value if exceeds the limit
v_cndmask_b32 v6, v6, v[vgprValuC+18], s[54:55]    // 
v_cmp_class_f32 s[54:55], v[vgprValuC+19], v10     // check NaN and +/-INF
v_med3_f32 v7, v[vgprValuC+19], v8, v9             // Clipping f32 value if exceeds the limit
v_cndmask_b32 v7, v7, v[vgprValuC+19], s[54:55]    // 
v_cvt_pk_bf8_f32  v16, v6, v7 op_sel:[0,0,1]       // convert two f32 accumulated values to fp8 and save it to hi_16[16:31]
s_lshl_b32  s54, s[sgprStrideD1J], 0               // incToNextRow: Scale by BPE
s_add_u32  s[sgprSrdD+0], s[sgprSrdD+0], s54       // incToNextRow: gra SRD += inc(lower)
s_addc_u32  s[sgprSrdD+1], s[sgprSrdD+1], 0        // incToNextRow: gra SRD += inc(upper)
_buffer_store_b32 v16, v11, s[sgprSrdD:sgprSrdD+3], 0, offen, offset:0,  sc0 sc1 // store D

s_waitcnt vmcnt(17)                                // wait C (interleaved) 17 = 18 - 1 + 1 - 1
V_cvt_pk_f32_bf8 v[6:7], v14    // convert two f8 in lo_16 to f32
_v_mac_f32 v[vgprValuC+20], v6, s[sgprBeta]        // finalSum = sum*alpha + C*beta
_v_mac_f32 v[vgprValuC+21], v7, s[sgprBeta]        // finalSum = sum*alpha + C*beta
V_cvt_pk_f32_bf8 v[6:7], v14  src0_sel:WORD_1  // convert two f8 in hi_16 to f32
_v_mac_f32 v[vgprValuC+22], v6, s[sgprBeta]        // finalSum = sum*alpha + C*beta
_v_mac_f32 v[vgprValuC+23], v7, s[sgprBeta]        // finalSum = sum*alpha + C*beta
v_cmp_class_f32 s[54:55], v[vgprValuC+20], v10     // check NaN and +/-INF
v_med3_f32 v6, v[vgprValuC+20], v8, v9             // Clipping f32 value if exceeds the limit
v_cndmask_b32 v6, v6, v[vgprValuC+20], s[54:55]    // 
v_cmp_class_f32 s[54:55], v[vgprValuC+21], v10     // check NaN and +/-INF
v_med3_f32 v7, v[vgprValuC+21], v8, v9             // Clipping f32 value if exceeds the limit
v_cndmask_b32 v7, v7, v[vgprValuC+21], s[54:55]    // 
v_cvt_pk_bf8_f32  v20, v6, v7 op_sel:[0,0,0]       // convert two f32 accumulated values to fp8 and save it to lo_16[0:15]
v_cmp_class_f32 s[54:55], v[vgprValuC+22], v10     // check NaN and +/-INF
v_med3_f32 v6, v[vgprValuC+22], v8, v9             // Clipping f32 value if exceeds the limit
v_cndmask_b32 v6, v6, v[vgprValuC+22], s[54:55]    // 
v_cmp_class_f32 s[54:55], v[vgprValuC+23], v10     // check NaN and +/-INF
v_med3_f32 v7, v[vgprValuC+23], v8, v9             // Clipping f32 value if exceeds the limit
v_cndmask_b32 v7, v7, v[vgprValuC+23], s[54:55]    // 
v_cvt_pk_bf8_f32  v20, v6, v7 op_sel:[0,0,1]       // convert two f32 accumulated values to fp8 and save it to hi_16[16:31]
s_lshl_b32  s54, s[sgprStrideD1J], 0               // incToNextRow: Scale by BPE
s_add_u32  s[sgprSrdD+0], s[sgprSrdD+0], s54       // incToNextRow: gra SRD += inc(lower)
s_addc_u32  s[sgprSrdD+1], s[sgprSrdD+1], 0        // incToNextRow: gra SRD += inc(upper)
_buffer_store_b32 v20, v11, s[sgprSrdD:sgprSrdD+3], 0, offen, offset:0,  sc0 sc1 // store D

s_waitcnt vmcnt(17)                                // wait C (interleaved) 17 = 18 - 2 + 2 - 1
V_cvt_pk_f32_bf8 v[6:7], v15    // convert two f8 in lo_16 to f32
_v_mac_f32 v[vgprValuC+24], v6, s[sgprBeta]        // finalSum = sum*alpha + C*beta
_v_mac_f32 v[vgprValuC+25], v7, s[sgprBeta]        // finalSum = sum*alpha + C*beta
V_cvt_pk_f32_bf8 v[6:7], v15  src0_sel:WORD_1  // convert two f8 in hi_16 to f32
_v_mac_f32 v[vgprValuC+26], v6, s[sgprBeta]        // finalSum = sum*alpha + C*beta
_v_mac_f32 v[vgprValuC+27], v7, s[sgprBeta]        // finalSum = sum*alpha + C*beta
v_cmp_class_f32 s[54:55], v[vgprValuC+24], v10     // check NaN and +/-INF
v_med3_f32 v6, v[vgprValuC+24], v8, v9             // Clipping f32 value if exceeds the limit
v_cndmask_b32 v6, v6, v[vgprValuC+24], s[54:55]    // 
v_cmp_class_f32 s[54:55], v[vgprValuC+25], v10     // check NaN and +/-INF
v_med3_f32 v7, v[vgprValuC+25], v8, v9             // Clipping f32 value if exceeds the limit
v_cndmask_b32 v7, v7, v[vgprValuC+25], s[54:55]    // 
v_cvt_pk_bf8_f32  v24, v6, v7 op_sel:[0,0,0]       // convert two f32 accumulated values to fp8 and save it to lo_16[0:15]
v_cmp_class_f32 s[54:55], v[vgprValuC+26], v10     // check NaN and +/-INF
v_med3_f32 v6, v[vgprValuC+26], v8, v9             // Clipping f32 value if exceeds the limit
v_cndmask_b32 v6, v6, v[vgprValuC+26], s[54:55]    // 
v_cmp_class_f32 s[54:55], v[vgprValuC+27], v10     // check NaN and +/-INF
v_med3_f32 v7, v[vgprValuC+27], v8, v9             // Clipping f32 value if exceeds the limit
v_cndmask_b32 v7, v7, v[vgprValuC+27], s[54:55]    // 
v_cvt_pk_bf8_f32  v24, v6, v7 op_sel:[0,0,1]       // convert two f32 accumulated values to fp8 and save it to hi_16[16:31]
s_mul_i32 s54, s[sgprStrideD1J], 13                // scale StrideD *= numRows(13) * bpe
s_add_u32  s[sgprSrdD+0], s[sgprSrdD+0], s54       // incToNextRow: gra SRD += inc(lower)
s_addc_u32  s[sgprSrdD+1], s[sgprSrdD+1], 0        // incToNextRow: gra SRD += inc(upper)
_buffer_store_b32 v24, v11, s[sgprSrdD:sgprSrdD+3], 0, offen, offset:0,  sc0 sc1 // store D

s_waitcnt vmcnt(17)                                // wait C (interleaved) 17 = 18 - 3 + 3 - 1
V_cvt_pk_f32_bf8 v[6:7], v28    // convert two f8 in lo_16 to f32
_v_mac_f32 v[vgprValuC+32], v6, s[sgprBeta]        // finalSum = sum*alpha + C*beta
_v_mac_f32 v[vgprValuC+33], v7, s[sgprBeta]        // finalSum = sum*alpha + C*beta
V_cvt_pk_f32_bf8 v[6:7], v28  src0_sel:WORD_1  // convert two f8 in hi_16 to f32
_v_mac_f32 v[vgprValuC+34], v6, s[sgprBeta]        // finalSum = sum*alpha + C*beta
_v_mac_f32 v[vgprValuC+35], v7, s[sgprBeta]        // finalSum = sum*alpha + C*beta
v_cmp_class_f32 s[54:55], v[vgprValuC+32], v10     // check NaN and +/-INF
v_med3_f32 v6, v[vgprValuC+32], v8, v9             // Clipping f32 value if exceeds the limit
v_cndmask_b32 v6, v6, v[vgprValuC+32], s[54:55]    // 
v_cmp_class_f32 s[54:55], v[vgprValuC+33], v10     // check NaN and +/-INF
v_med3_f32 v7, v[vgprValuC+33], v8, v9             // Clipping f32 value if exceeds the limit
v_cndmask_b32 v7, v7, v[vgprValuC+33], s[54:55]    // 
v_cvt_pk_bf8_f32  v32, v6, v7 op_sel:[0,0,0]       // convert two f32 accumulated values to fp8 and save it to lo_16[0:15]
v_cmp_class_f32 s[54:55], v[vgprValuC+34], v10     // check NaN and +/-INF
v_med3_f32 v6, v[vgprValuC+34], v8, v9             // Clipping f32 value if exceeds the limit
v_cndmask_b32 v6, v6, v[vgprValuC+34], s[54:55]    // 
v_cmp_class_f32 s[54:55], v[vgprValuC+35], v10     // check NaN and +/-INF
v_med3_f32 v7, v[vgprValuC+35], v8, v9             // Clipping f32 value if exceeds the limit
v_cndmask_b32 v7, v7, v[vgprValuC+35], s[54:55]    // 
v_cvt_pk_bf8_f32  v32, v6, v7 op_sel:[0,0,1]       // convert two f32 accumulated values to fp8 and save it to hi_16[16:31]
s_lshl_b32  s54, s[sgprStrideD1J], 0               // incToNextRow: Scale by BPE
s_add_u32  s[sgprSrdD+0], s[sgprSrdD+0], s54       // incToNextRow: gra SRD += inc(lower)
s_addc_u32  s[sgprSrdD+1], s[sgprSrdD+1], 0        // incToNextRow: gra SRD += inc(upper)
_buffer_store_b32 v32, v11, s[sgprSrdD:sgprSrdD+3], 0, offen, offset:0,  sc0 sc1 // store D

s_waitcnt vmcnt(17)                                // wait C (interleaved) 17 = 18 - 4 + 4 - 1
V_cvt_pk_f32_bf8 v[6:7], v29    // convert two f8 in lo_16 to f32
_v_mac_f32 v[vgprValuC+36], v6, s[sgprBeta]        // finalSum = sum*alpha + C*beta
_v_mac_f32 v[vgprValuC+37], v7, s[sgprBeta]        // finalSum = sum*alpha + C*beta
V_cvt_pk_f32_bf8 v[6:7], v29  src0_sel:WORD_1  // convert two f8 in hi_16 to f32
_v_mac_f32 v[vgprValuC+38], v6, s[sgprBeta]        // finalSum = sum*alpha + C*beta
_v_mac_f32 v[vgprValuC+39], v7, s[sgprBeta]        // finalSum = sum*alpha + C*beta
v_cmp_class_f32 s[54:55], v[vgprValuC+36], v10     // check NaN and +/-INF
v_med3_f32 v6, v[vgprValuC+36], v8, v9             // Clipping f32 value if exceeds the limit
v_cndmask_b32 v6, v6, v[vgprValuC+36], s[54:55]    // 
v_cmp_class_f32 s[54:55], v[vgprValuC+37], v10     // check NaN and +/-INF
v_med3_f32 v7, v[vgprValuC+37], v8, v9             // Clipping f32 value if exceeds the limit
v_cndmask_b32 v7, v7, v[vgprValuC+37], s[54:55]    // 
v_cvt_pk_bf8_f32  v36, v6, v7 op_sel:[0,0,0]       // convert two f32 accumulated values to fp8 and save it to lo_16[0:15]
v_cmp_class_f32 s[54:55], v[vgprValuC+38], v10     // check NaN and +/-INF
v_med3_f32 v6, v[vgprValuC+38], v8, v9             // Clipping f32 value if exceeds the limit
v_cndmask_b32 v6, v6, v[vgprValuC+38], s[54:55]    // 
v_cmp_class_f32 s[54:55], v[vgprValuC+39], v10     // check NaN and +/-INF
v_med3_f32 v7, v[vgprValuC+39], v8, v9             // Clipping f32 value if exceeds the limit
v_cndmask_b32 v7, v7, v[vgprValuC+39], s[54:55]    // 
v_cvt_pk_bf8_f32  v36, v6, v7 op_sel:[0,0,1]       // convert two f32 accumulated values to fp8 and save it to hi_16[16:31]
s_lshl_b32  s54, s[sgprStrideD1J], 0               // incToNextRow: Scale by BPE
	;; [unrolled: 26-line block ×3, first 2 shown]
s_add_u32  s[sgprSrdD+0], s[sgprSrdD+0], s54       // incToNextRow: gra SRD += inc(lower)
s_addc_u32  s[sgprSrdD+1], s[sgprSrdD+1], 0        // incToNextRow: gra SRD += inc(upper)
_buffer_store_b32 v40, v11, s[sgprSrdD:sgprSrdD+3], 0, offen, offset:0,  sc0 sc1 // store D

s_waitcnt vmcnt(17)                                // wait C (interleaved) 17 = 18 - 6 + 6 - 1
V_cvt_pk_f32_bf8 v[6:7], v31    // convert two f8 in lo_16 to f32
_v_mac_f32 v[vgprValuC+44], v6, s[sgprBeta]        // finalSum = sum*alpha + C*beta
_v_mac_f32 v[vgprValuC+45], v7, s[sgprBeta]        // finalSum = sum*alpha + C*beta
V_cvt_pk_f32_bf8 v[6:7], v31  src0_sel:WORD_1  // convert two f8 in hi_16 to f32
_v_mac_f32 v[vgprValuC+46], v6, s[sgprBeta]        // finalSum = sum*alpha + C*beta
_v_mac_f32 v[vgprValuC+47], v7, s[sgprBeta]        // finalSum = sum*alpha + C*beta
v_cmp_class_f32 s[54:55], v[vgprValuC+44], v10     // check NaN and +/-INF
v_med3_f32 v6, v[vgprValuC+44], v8, v9             // Clipping f32 value if exceeds the limit
v_cndmask_b32 v6, v6, v[vgprValuC+44], s[54:55]    // 
v_cmp_class_f32 s[54:55], v[vgprValuC+45], v10     // check NaN and +/-INF
v_med3_f32 v7, v[vgprValuC+45], v8, v9             // Clipping f32 value if exceeds the limit
v_cndmask_b32 v7, v7, v[vgprValuC+45], s[54:55]    // 
v_cvt_pk_bf8_f32  v44, v6, v7 op_sel:[0,0,0]       // convert two f32 accumulated values to fp8 and save it to lo_16[0:15]
v_cmp_class_f32 s[54:55], v[vgprValuC+46], v10     // check NaN and +/-INF
v_med3_f32 v6, v[vgprValuC+46], v8, v9             // Clipping f32 value if exceeds the limit
v_cndmask_b32 v6, v6, v[vgprValuC+46], s[54:55]    // 
v_cmp_class_f32 s[54:55], v[vgprValuC+47], v10     // check NaN and +/-INF
v_med3_f32 v7, v[vgprValuC+47], v8, v9             // Clipping f32 value if exceeds the limit
v_cndmask_b32 v7, v7, v[vgprValuC+47], s[54:55]    // 
v_cvt_pk_bf8_f32  v44, v6, v7 op_sel:[0,0,1]       // convert two f32 accumulated values to fp8 and save it to hi_16[16:31]
s_mul_i32 s54, s[sgprStrideD1J], 13                // scale StrideD *= numRows(13) * bpe
s_add_u32  s[sgprSrdD+0], s[sgprSrdD+0], s54       // incToNextRow: gra SRD += inc(lower)
s_addc_u32  s[sgprSrdD+1], s[sgprSrdD+1], 0        // incToNextRow: gra SRD += inc(upper)
_buffer_store_b32 v44, v11, s[sgprSrdD:sgprSrdD+3], 0, offen, offset:0,  sc0 sc1 // store D

s_waitcnt vmcnt(17)                                // wait C (interleaved) 17 = 18 - 7 + 7 - 1
V_cvt_pk_f32_bf8 v[6:7], v48    // convert two f8 in lo_16 to f32
_v_mac_f32 v[vgprValuC+52], v6, s[sgprBeta]        // finalSum = sum*alpha + C*beta
_v_mac_f32 v[vgprValuC+53], v7, s[sgprBeta]        // finalSum = sum*alpha + C*beta
V_cvt_pk_f32_bf8 v[6:7], v48  src0_sel:WORD_1  // convert two f8 in hi_16 to f32
_v_mac_f32 v[vgprValuC+54], v6, s[sgprBeta]        // finalSum = sum*alpha + C*beta
_v_mac_f32 v[vgprValuC+55], v7, s[sgprBeta]        // finalSum = sum*alpha + C*beta
v_cmp_class_f32 s[54:55], v[vgprValuC+52], v10     // check NaN and +/-INF
v_med3_f32 v6, v[vgprValuC+52], v8, v9             // Clipping f32 value if exceeds the limit
v_cndmask_b32 v6, v6, v[vgprValuC+52], s[54:55]    // 
v_cmp_class_f32 s[54:55], v[vgprValuC+53], v10     // check NaN and +/-INF
v_med3_f32 v7, v[vgprValuC+53], v8, v9             // Clipping f32 value if exceeds the limit
v_cndmask_b32 v7, v7, v[vgprValuC+53], s[54:55]    // 
v_cvt_pk_bf8_f32  v52, v6, v7 op_sel:[0,0,0]       // convert two f32 accumulated values to fp8 and save it to lo_16[0:15]
v_cmp_class_f32 s[54:55], v[vgprValuC+54], v10     // check NaN and +/-INF
v_med3_f32 v6, v[vgprValuC+54], v8, v9             // Clipping f32 value if exceeds the limit
v_cndmask_b32 v6, v6, v[vgprValuC+54], s[54:55]    // 
v_cmp_class_f32 s[54:55], v[vgprValuC+55], v10     // check NaN and +/-INF
v_med3_f32 v7, v[vgprValuC+55], v8, v9             // Clipping f32 value if exceeds the limit
v_cndmask_b32 v7, v7, v[vgprValuC+55], s[54:55]    // 
v_cvt_pk_bf8_f32  v52, v6, v7 op_sel:[0,0,1]       // convert two f32 accumulated values to fp8 and save it to hi_16[16:31]
s_lshl_b32  s54, s[sgprStrideD1J], 0               // incToNextRow: Scale by BPE
s_add_u32  s[sgprSrdD+0], s[sgprSrdD+0], s54       // incToNextRow: gra SRD += inc(lower)
s_addc_u32  s[sgprSrdD+1], s[sgprSrdD+1], 0        // incToNextRow: gra SRD += inc(upper)
_buffer_store_b32 v52, v11, s[sgprSrdD:sgprSrdD+3], 0, offen, offset:0,  sc0 sc1 // store D

s_waitcnt vmcnt(17)                                // wait C (interleaved) 17 = 18 - 8 + 8 - 1
V_cvt_pk_f32_bf8 v[6:7], v49    // convert two f8 in lo_16 to f32
_v_mac_f32 v[vgprValuC+56], v6, s[sgprBeta]        // finalSum = sum*alpha + C*beta
_v_mac_f32 v[vgprValuC+57], v7, s[sgprBeta]        // finalSum = sum*alpha + C*beta
V_cvt_pk_f32_bf8 v[6:7], v49  src0_sel:WORD_1  // convert two f8 in hi_16 to f32
_v_mac_f32 v[vgprValuC+58], v6, s[sgprBeta]        // finalSum = sum*alpha + C*beta
_v_mac_f32 v[vgprValuC+59], v7, s[sgprBeta]        // finalSum = sum*alpha + C*beta
v_cmp_class_f32 s[54:55], v[vgprValuC+56], v10     // check NaN and +/-INF
v_med3_f32 v6, v[vgprValuC+56], v8, v9             // Clipping f32 value if exceeds the limit
v_cndmask_b32 v6, v6, v[vgprValuC+56], s[54:55]    // 
v_cmp_class_f32 s[54:55], v[vgprValuC+57], v10     // check NaN and +/-INF
v_med3_f32 v7, v[vgprValuC+57], v8, v9             // Clipping f32 value if exceeds the limit
v_cndmask_b32 v7, v7, v[vgprValuC+57], s[54:55]    // 
v_cvt_pk_bf8_f32  v56, v6, v7 op_sel:[0,0,0]       // convert two f32 accumulated values to fp8 and save it to lo_16[0:15]
v_cmp_class_f32 s[54:55], v[vgprValuC+58], v10     // check NaN and +/-INF
v_med3_f32 v6, v[vgprValuC+58], v8, v9             // Clipping f32 value if exceeds the limit
v_cndmask_b32 v6, v6, v[vgprValuC+58], s[54:55]    // 
v_cmp_class_f32 s[54:55], v[vgprValuC+59], v10     // check NaN and +/-INF
v_med3_f32 v7, v[vgprValuC+59], v8, v9             // Clipping f32 value if exceeds the limit
v_cndmask_b32 v7, v7, v[vgprValuC+59], s[54:55]    // 
v_cvt_pk_bf8_f32  v56, v6, v7 op_sel:[0,0,1]       // convert two f32 accumulated values to fp8 and save it to hi_16[16:31]
s_lshl_b32  s54, s[sgprStrideD1J], 0               // incToNextRow: Scale by BPE
	;; [unrolled: 26-line block ×3, first 2 shown]
s_add_u32  s[sgprSrdD+0], s[sgprSrdD+0], s54       // incToNextRow: gra SRD += inc(lower)
s_addc_u32  s[sgprSrdD+1], s[sgprSrdD+1], 0        // incToNextRow: gra SRD += inc(upper)
_buffer_store_b32 v60, v11, s[sgprSrdD:sgprSrdD+3], 0, offen, offset:0,  sc0 sc1 // store D

s_waitcnt vmcnt(17)                                // wait C (interleaved) 17 = 18 - 10 + 10 - 1
V_cvt_pk_f32_bf8 v[6:7], v51    // convert two f8 in lo_16 to f32
_v_mac_f32 v[vgprValuC+64], v6, s[sgprBeta]        // finalSum = sum*alpha + C*beta
_v_mac_f32 v[vgprValuC+65], v7, s[sgprBeta]        // finalSum = sum*alpha + C*beta
V_cvt_pk_f32_bf8 v[6:7], v51  src0_sel:WORD_1  // convert two f8 in hi_16 to f32
_v_mac_f32 v[vgprValuC+66], v6, s[sgprBeta]        // finalSum = sum*alpha + C*beta
_v_mac_f32 v[vgprValuC+67], v7, s[sgprBeta]        // finalSum = sum*alpha + C*beta
v_cmp_class_f32 s[54:55], v[vgprValuC+64], v10     // check NaN and +/-INF
v_med3_f32 v6, v[vgprValuC+64], v8, v9             // Clipping f32 value if exceeds the limit
v_cndmask_b32 v6, v6, v[vgprValuC+64], s[54:55]    // 
v_cmp_class_f32 s[54:55], v[vgprValuC+65], v10     // check NaN and +/-INF
v_med3_f32 v7, v[vgprValuC+65], v8, v9             // Clipping f32 value if exceeds the limit
v_cndmask_b32 v7, v7, v[vgprValuC+65], s[54:55]    // 
v_cvt_pk_bf8_f32  v64, v6, v7 op_sel:[0,0,0]       // convert two f32 accumulated values to fp8 and save it to lo_16[0:15]
v_cmp_class_f32 s[54:55], v[vgprValuC+66], v10     // check NaN and +/-INF
v_med3_f32 v6, v[vgprValuC+66], v8, v9             // Clipping f32 value if exceeds the limit
v_cndmask_b32 v6, v6, v[vgprValuC+66], s[54:55]    // 
v_cmp_class_f32 s[54:55], v[vgprValuC+67], v10     // check NaN and +/-INF
v_med3_f32 v7, v[vgprValuC+67], v8, v9             // Clipping f32 value if exceeds the limit
v_cndmask_b32 v7, v7, v[vgprValuC+67], s[54:55]    // 
v_cvt_pk_bf8_f32  v64, v6, v7 op_sel:[0,0,1]       // convert two f32 accumulated values to fp8 and save it to hi_16[16:31]
s_mul_i32 s54, s[sgprStrideD1J], 13                // scale StrideD *= numRows(13) * bpe
s_add_u32  s[sgprSrdD+0], s[sgprSrdD+0], s54       // incToNextRow: gra SRD += inc(lower)
s_addc_u32  s[sgprSrdD+1], s[sgprSrdD+1], 0        // incToNextRow: gra SRD += inc(upper)
_buffer_store_b32 v64, v11, s[sgprSrdD:sgprSrdD+3], 0, offen, offset:0,  sc0 sc1 // store D

s_waitcnt vmcnt(17)                                // wait C (interleaved) 17 = 18 - 11 + 11 - 1
V_cvt_pk_f32_bf8 v[6:7], v68    // convert two f8 in lo_16 to f32
_v_mac_f32 v[vgprValuC+72], v6, s[sgprBeta]        // finalSum = sum*alpha + C*beta
_v_mac_f32 v[vgprValuC+73], v7, s[sgprBeta]        // finalSum = sum*alpha + C*beta
V_cvt_pk_f32_bf8 v[6:7], v68  src0_sel:WORD_1  // convert two f8 in hi_16 to f32
_v_mac_f32 v[vgprValuC+74], v6, s[sgprBeta]        // finalSum = sum*alpha + C*beta
_v_mac_f32 v[vgprValuC+75], v7, s[sgprBeta]        // finalSum = sum*alpha + C*beta
v_cmp_class_f32 s[54:55], v[vgprValuC+72], v10     // check NaN and +/-INF
v_med3_f32 v6, v[vgprValuC+72], v8, v9             // Clipping f32 value if exceeds the limit
v_cndmask_b32 v6, v6, v[vgprValuC+72], s[54:55]    // 
v_cmp_class_f32 s[54:55], v[vgprValuC+73], v10     // check NaN and +/-INF
v_med3_f32 v7, v[vgprValuC+73], v8, v9             // Clipping f32 value if exceeds the limit
v_cndmask_b32 v7, v7, v[vgprValuC+73], s[54:55]    // 
v_cvt_pk_bf8_f32  v72, v6, v7 op_sel:[0,0,0]       // convert two f32 accumulated values to fp8 and save it to lo_16[0:15]
v_cmp_class_f32 s[54:55], v[vgprValuC+74], v10     // check NaN and +/-INF
v_med3_f32 v6, v[vgprValuC+74], v8, v9             // Clipping f32 value if exceeds the limit
v_cndmask_b32 v6, v6, v[vgprValuC+74], s[54:55]    // 
v_cmp_class_f32 s[54:55], v[vgprValuC+75], v10     // check NaN and +/-INF
v_med3_f32 v7, v[vgprValuC+75], v8, v9             // Clipping f32 value if exceeds the limit
v_cndmask_b32 v7, v7, v[vgprValuC+75], s[54:55]    // 
v_cvt_pk_bf8_f32  v72, v6, v7 op_sel:[0,0,1]       // convert two f32 accumulated values to fp8 and save it to hi_16[16:31]
s_lshl_b32  s54, s[sgprStrideD1J], 0               // incToNextRow: Scale by BPE
s_add_u32  s[sgprSrdD+0], s[sgprSrdD+0], s54       // incToNextRow: gra SRD += inc(lower)
s_addc_u32  s[sgprSrdD+1], s[sgprSrdD+1], 0        // incToNextRow: gra SRD += inc(upper)
_buffer_store_b32 v72, v11, s[sgprSrdD:sgprSrdD+3], 0, offen, offset:0,  sc0 sc1 // store D

s_waitcnt vmcnt(17)                                // wait C (interleaved) 17 = 18 - 12 + 12 - 1
V_cvt_pk_f32_bf8 v[6:7], v69    // convert two f8 in lo_16 to f32
_v_mac_f32 v[vgprValuC+76], v6, s[sgprBeta]        // finalSum = sum*alpha + C*beta
_v_mac_f32 v[vgprValuC+77], v7, s[sgprBeta]        // finalSum = sum*alpha + C*beta
V_cvt_pk_f32_bf8 v[6:7], v69  src0_sel:WORD_1  // convert two f8 in hi_16 to f32
_v_mac_f32 v[vgprValuC+78], v6, s[sgprBeta]        // finalSum = sum*alpha + C*beta
_v_mac_f32 v[vgprValuC+79], v7, s[sgprBeta]        // finalSum = sum*alpha + C*beta
v_cmp_class_f32 s[54:55], v[vgprValuC+76], v10     // check NaN and +/-INF
v_med3_f32 v6, v[vgprValuC+76], v8, v9             // Clipping f32 value if exceeds the limit
v_cndmask_b32 v6, v6, v[vgprValuC+76], s[54:55]    // 
v_cmp_class_f32 s[54:55], v[vgprValuC+77], v10     // check NaN and +/-INF
v_med3_f32 v7, v[vgprValuC+77], v8, v9             // Clipping f32 value if exceeds the limit
v_cndmask_b32 v7, v7, v[vgprValuC+77], s[54:55]    // 
v_cvt_pk_bf8_f32  v76, v6, v7 op_sel:[0,0,0]       // convert two f32 accumulated values to fp8 and save it to lo_16[0:15]
v_cmp_class_f32 s[54:55], v[vgprValuC+78], v10     // check NaN and +/-INF
v_med3_f32 v6, v[vgprValuC+78], v8, v9             // Clipping f32 value if exceeds the limit
v_cndmask_b32 v6, v6, v[vgprValuC+78], s[54:55]    // 
v_cmp_class_f32 s[54:55], v[vgprValuC+79], v10     // check NaN and +/-INF
v_med3_f32 v7, v[vgprValuC+79], v8, v9             // Clipping f32 value if exceeds the limit
v_cndmask_b32 v7, v7, v[vgprValuC+79], s[54:55]    // 
v_cvt_pk_bf8_f32  v76, v6, v7 op_sel:[0,0,1]       // convert two f32 accumulated values to fp8 and save it to hi_16[16:31]
s_lshl_b32  s54, s[sgprStrideD1J], 0               // incToNextRow: Scale by BPE
s_add_u32  s[sgprSrdD+0], s[sgprSrdD+0], s54       // incToNextRow: gra SRD += inc(lower)
s_addc_u32  s[sgprSrdD+1], s[sgprSrdD+1], 0        // incToNextRow: gra SRD += inc(upper)
_buffer_store_b32 v76, v11, s[sgprSrdD:sgprSrdD+3], 0, offen, offset:0,  sc0 sc1 // store D

s_waitcnt vmcnt(17)                                // wait C (interleaved) 17 = 18 - 13 + 13 - 1
V_cvt_pk_f32_bf8 v[6:7], v70    // convert two f8 in lo_16 to f32
_v_mac_f32 v[vgprValuC+80], v6, s[sgprBeta]        // finalSum = sum*alpha + C*beta
_v_mac_f32 v[vgprValuC+81], v7, s[sgprBeta]        // finalSum = sum*alpha + C*beta
V_cvt_pk_f32_bf8 v[6:7], v70  src0_sel:WORD_1  // convert two f8 in hi_16 to f32
_v_mac_f32 v[vgprValuC+82], v6, s[sgprBeta]        // finalSum = sum*alpha + C*beta
_v_mac_f32 v[vgprValuC+83], v7, s[sgprBeta]        // finalSum = sum*alpha + C*beta
v_cmp_class_f32 s[54:55], v[vgprValuC+80], v10     // check NaN and +/-INF
v_med3_f32 v6, v[vgprValuC+80], v8, v9             // Clipping f32 value if exceeds the limit
v_cndmask_b32 v6, v6, v[vgprValuC+80], s[54:55]    // 
v_cmp_class_f32 s[54:55], v[vgprValuC+81], v10     // check NaN and +/-INF
v_med3_f32 v7, v[vgprValuC+81], v8, v9             // Clipping f32 value if exceeds the limit
v_cndmask_b32 v7, v7, v[vgprValuC+81], s[54:55]    // 
v_cvt_pk_bf8_f32  v80, v6, v7 op_sel:[0,0,0]       // convert two f32 accumulated values to fp8 and save it to lo_16[0:15]
v_cmp_class_f32 s[54:55], v[vgprValuC+82], v10     // check NaN and +/-INF
v_med3_f32 v6, v[vgprValuC+82], v8, v9             // Clipping f32 value if exceeds the limit
v_cndmask_b32 v6, v6, v[vgprValuC+82], s[54:55]    // 
v_cmp_class_f32 s[54:55], v[vgprValuC+83], v10     // check NaN and +/-INF
v_med3_f32 v7, v[vgprValuC+83], v8, v9             // Clipping f32 value if exceeds the limit
v_cndmask_b32 v7, v7, v[vgprValuC+83], s[54:55]    // 
v_cvt_pk_bf8_f32  v80, v6, v7 op_sel:[0,0,1]       // convert two f32 accumulated values to fp8 and save it to hi_16[16:31]
s_lshl_b32  s54, s[sgprStrideD1J], 0               // incToNextRow: Scale by BPE
s_add_u32  s[sgprSrdD+0], s[sgprSrdD+0], s54       // incToNextRow: gra SRD += inc(lower)
s_addc_u32  s[sgprSrdD+1], s[sgprSrdD+1], 0        // incToNextRow: gra SRD += inc(upper)
_buffer_store_b32 v80, v11, s[sgprSrdD:sgprSrdD+3], 0, offen, offset:0,  sc0 sc1 // store D

s_waitcnt vmcnt(17)                                // wait C (interleaved) 17 = 18 - 14 + 14 - 1
V_cvt_pk_f32_bf8 v[6:7], v71    // convert two f8 in lo_16 to f32
_v_mac_f32 v[vgprValuC+84], v6, s[sgprBeta]        // finalSum = sum*alpha + C*beta
_v_mac_f32 v[vgprValuC+85], v7, s[sgprBeta]        // finalSum = sum*alpha + C*beta
V_cvt_pk_f32_bf8 v[6:7], v71  src0_sel:WORD_1  // convert two f8 in hi_16 to f32
_v_mac_f32 v[vgprValuC+86], v6, s[sgprBeta]        // finalSum = sum*alpha + C*beta
_v_mac_f32 v[vgprValuC+87], v7, s[sgprBeta]        // finalSum = sum*alpha + C*beta
v_cmp_class_f32 s[54:55], v[vgprValuC+84], v10     // check NaN and +/-INF
v_med3_f32 v6, v[vgprValuC+84], v8, v9             // Clipping f32 value if exceeds the limit
v_cndmask_b32 v6, v6, v[vgprValuC+84], s[54:55]    // 
v_cmp_class_f32 s[54:55], v[vgprValuC+85], v10     // check NaN and +/-INF
v_med3_f32 v7, v[vgprValuC+85], v8, v9             // Clipping f32 value if exceeds the limit
v_cndmask_b32 v7, v7, v[vgprValuC+85], s[54:55]    // 
v_cvt_pk_bf8_f32  v84, v6, v7 op_sel:[0,0,0]       // convert two f32 accumulated values to fp8 and save it to lo_16[0:15]
v_cmp_class_f32 s[54:55], v[vgprValuC+86], v10     // check NaN and +/-INF
v_med3_f32 v6, v[vgprValuC+86], v8, v9             // Clipping f32 value if exceeds the limit
v_cndmask_b32 v6, v6, v[vgprValuC+86], s[54:55]    // 
v_cmp_class_f32 s[54:55], v[vgprValuC+87], v10     // check NaN and +/-INF
v_med3_f32 v7, v[vgprValuC+87], v8, v9             // Clipping f32 value if exceeds the limit
v_cndmask_b32 v7, v7, v[vgprValuC+87], s[54:55]    // 
v_cvt_pk_bf8_f32  v84, v6, v7 op_sel:[0,0,1]       // convert two f32 accumulated values to fp8 and save it to hi_16[16:31]
s_mul_i32 s54, s[sgprStrideD1J], 13                // scale StrideD *= numRows(13) * bpe
s_add_u32  s[sgprSrdD+0], s[sgprSrdD+0], s54       // incToNextRow: gra SRD += inc(lower)
s_addc_u32  s[sgprSrdD+1], s[sgprSrdD+1], 0        // incToNextRow: gra SRD += inc(upper)
_buffer_store_b32 v84, v11, s[sgprSrdD:sgprSrdD+3], 0, offen, offset:0,  sc0 sc1 // store D

s_waitcnt vmcnt(17)                                // wait C (interleaved) 17 = 18 - 15 + 15 - 1
V_cvt_pk_f32_bf8 v[6:7], v88    // convert two f8 in lo_16 to f32
_v_mac_f32 v[vgprValuC+92], v6, s[sgprBeta]        // finalSum = sum*alpha + C*beta
_v_mac_f32 v[vgprValuC+93], v7, s[sgprBeta]        // finalSum = sum*alpha + C*beta
V_cvt_pk_f32_bf8 v[6:7], v88  src0_sel:WORD_1  // convert two f8 in hi_16 to f32
_v_mac_f32 v[vgprValuC+94], v6, s[sgprBeta]        // finalSum = sum*alpha + C*beta
_v_mac_f32 v[vgprValuC+95], v7, s[sgprBeta]        // finalSum = sum*alpha + C*beta
v_cmp_class_f32 s[54:55], v[vgprValuC+92], v10     // check NaN and +/-INF
v_med3_f32 v6, v[vgprValuC+92], v8, v9             // Clipping f32 value if exceeds the limit
v_cndmask_b32 v6, v6, v[vgprValuC+92], s[54:55]    // 
v_cmp_class_f32 s[54:55], v[vgprValuC+93], v10     // check NaN and +/-INF
v_med3_f32 v7, v[vgprValuC+93], v8, v9             // Clipping f32 value if exceeds the limit
v_cndmask_b32 v7, v7, v[vgprValuC+93], s[54:55]    // 
v_cvt_pk_bf8_f32  v92, v6, v7 op_sel:[0,0,0]       // convert two f32 accumulated values to fp8 and save it to lo_16[0:15]
v_cmp_class_f32 s[54:55], v[vgprValuC+94], v10     // check NaN and +/-INF
v_med3_f32 v6, v[vgprValuC+94], v8, v9             // Clipping f32 value if exceeds the limit
v_cndmask_b32 v6, v6, v[vgprValuC+94], s[54:55]    // 
v_cmp_class_f32 s[54:55], v[vgprValuC+95], v10     // check NaN and +/-INF
v_med3_f32 v7, v[vgprValuC+95], v8, v9             // Clipping f32 value if exceeds the limit
v_cndmask_b32 v7, v7, v[vgprValuC+95], s[54:55]    // 
v_cvt_pk_bf8_f32  v92, v6, v7 op_sel:[0,0,1]       // convert two f32 accumulated values to fp8 and save it to hi_16[16:31]
s_lshl_b32  s54, s[sgprStrideD1J], 0               // incToNextRow: Scale by BPE
s_add_u32  s[sgprSrdD+0], s[sgprSrdD+0], s54       // incToNextRow: gra SRD += inc(lower)
s_addc_u32  s[sgprSrdD+1], s[sgprSrdD+1], 0        // incToNextRow: gra SRD += inc(upper)
_buffer_store_b32 v92, v11, s[sgprSrdD:sgprSrdD+3], 0, offen, offset:0,  sc0 sc1 // store D

s_waitcnt vmcnt(17)                                // wait C (interleaved) 17 = 18 - 16 + 16 - 1
V_cvt_pk_f32_bf8 v[6:7], v89    // convert two f8 in lo_16 to f32
_v_mac_f32 v[vgprValuC+96], v6, s[sgprBeta]        // finalSum = sum*alpha + C*beta
_v_mac_f32 v[vgprValuC+97], v7, s[sgprBeta]        // finalSum = sum*alpha + C*beta
V_cvt_pk_f32_bf8 v[6:7], v89  src0_sel:WORD_1  // convert two f8 in hi_16 to f32
_v_mac_f32 v[vgprValuC+98], v6, s[sgprBeta]        // finalSum = sum*alpha + C*beta
_v_mac_f32 v[vgprValuC+99], v7, s[sgprBeta]        // finalSum = sum*alpha + C*beta
v_cmp_class_f32 s[54:55], v[vgprValuC+96], v10     // check NaN and +/-INF
v_med3_f32 v6, v[vgprValuC+96], v8, v9             // Clipping f32 value if exceeds the limit
v_cndmask_b32 v6, v6, v[vgprValuC+96], s[54:55]    // 
v_cmp_class_f32 s[54:55], v[vgprValuC+97], v10     // check NaN and +/-INF
v_med3_f32 v7, v[vgprValuC+97], v8, v9             // Clipping f32 value if exceeds the limit
v_cndmask_b32 v7, v7, v[vgprValuC+97], s[54:55]    // 
v_cvt_pk_bf8_f32  v96, v6, v7 op_sel:[0,0,0]       // convert two f32 accumulated values to fp8 and save it to lo_16[0:15]
v_cmp_class_f32 s[54:55], v[vgprValuC+98], v10     // check NaN and +/-INF
v_med3_f32 v6, v[vgprValuC+98], v8, v9             // Clipping f32 value if exceeds the limit
v_cndmask_b32 v6, v6, v[vgprValuC+98], s[54:55]    // 
v_cmp_class_f32 s[54:55], v[vgprValuC+99], v10     // check NaN and +/-INF
v_med3_f32 v7, v[vgprValuC+99], v8, v9             // Clipping f32 value if exceeds the limit
v_cndmask_b32 v7, v7, v[vgprValuC+99], s[54:55]    // 
v_cvt_pk_bf8_f32  v96, v6, v7 op_sel:[0,0,1]       // convert two f32 accumulated values to fp8 and save it to hi_16[16:31]
s_lshl_b32  s54, s[sgprStrideD1J], 0               // incToNextRow: Scale by BPE
s_add_u32  s[sgprSrdD+0], s[sgprSrdD+0], s54       // incToNextRow: gra SRD += inc(lower)
s_addc_u32  s[sgprSrdD+1], s[sgprSrdD+1], 0        // incToNextRow: gra SRD += inc(upper)
_buffer_store_b32 v96, v11, s[sgprSrdD:sgprSrdD+3], 0, offen, offset:0,  sc0 sc1 // store D

s_waitcnt vmcnt(17)                                // wait C (interleaved) 17 = 18 - 17 + 17 - 1
V_cvt_pk_f32_bf8 v[6:7], v90    // convert two f8 in lo_16 to f32
_v_mac_f32 v[vgprValuC+100], v6, s[sgprBeta]       // finalSum = sum*alpha + C*beta
_v_mac_f32 v[vgprValuC+101], v7, s[sgprBeta]       // finalSum = sum*alpha + C*beta
V_cvt_pk_f32_bf8 v[6:7], v90  src0_sel:WORD_1  // convert two f8 in hi_16 to f32
_v_mac_f32 v[vgprValuC+102], v6, s[sgprBeta]       // finalSum = sum*alpha + C*beta
_v_mac_f32 v[vgprValuC+103], v7, s[sgprBeta]       // finalSum = sum*alpha + C*beta
v_cmp_class_f32 s[54:55], v[vgprValuC+100], v10    // check NaN and +/-INF
v_med3_f32 v6, v[vgprValuC+100], v8, v9            // Clipping f32 value if exceeds the limit
v_cndmask_b32 v6, v6, v[vgprValuC+100], s[54:55]   // 
v_cmp_class_f32 s[54:55], v[vgprValuC+101], v10    // check NaN and +/-INF
v_med3_f32 v7, v[vgprValuC+101], v8, v9            // Clipping f32 value if exceeds the limit
v_cndmask_b32 v7, v7, v[vgprValuC+101], s[54:55]   // 
v_cvt_pk_bf8_f32  v100, v6, v7 op_sel:[0,0,0]      // convert two f32 accumulated values to fp8 and save it to lo_16[0:15]
v_cmp_class_f32 s[54:55], v[vgprValuC+102], v10    // check NaN and +/-INF
v_med3_f32 v6, v[vgprValuC+102], v8, v9            // Clipping f32 value if exceeds the limit
v_cndmask_b32 v6, v6, v[vgprValuC+102], s[54:55]   // 
v_cmp_class_f32 s[54:55], v[vgprValuC+103], v10    // check NaN and +/-INF
v_med3_f32 v7, v[vgprValuC+103], v8, v9            // Clipping f32 value if exceeds the limit
v_cndmask_b32 v7, v7, v[vgprValuC+103], s[54:55]   // 
v_cvt_pk_bf8_f32  v100, v6, v7 op_sel:[0,0,1]      // convert two f32 accumulated values to fp8 and save it to hi_16[16:31]
s_lshl_b32  s54, s[sgprStrideD1J], 0               // incToNextRow: Scale by BPE
s_add_u32  s[sgprSrdD+0], s[sgprSrdD+0], s54       // incToNextRow: gra SRD += inc(lower)
s_addc_u32  s[sgprSrdD+1], s[sgprSrdD+1], 0        // incToNextRow: gra SRD += inc(upper)
_buffer_store_b32 v100, v11, s[sgprSrdD:sgprSrdD+3], 0, offen, offset:0,  sc0 sc1 // store D
s_nop 0                                            // 1 wait state required when next inst writes vgprs held by previous dwordx4 store inst
s_branch label_GW_End_42                           // jump to end
GW_B1_E1_41:

/* edge=1, allocate 6 sgpr. perBatchTmpS=4 perBatchMaskS=2 perElementMaskS=0 elementsPerBatch=39 */
/* optSingleColVgpr=0 optSharedColVgpr=0 optSGPRUsage=BufferLoad_Edge_Mask optSrdIncForRow=0 */
s_sleep 3 // optimization: sync and wait
s_barrier

/******************************************/
/* Global Write Alpha Beta Edge Batch #0 (d1,d0,vc1,vc0) = */
/*    (0,0,0,0:vw4); (0,0,1,0:vw4); (0,0,2,0:vw4); (0,0,3,0:vw4); (1,0,0,0:vw4); (1,0,1,0:vw4); (1,0,2,0:vw4); (1,0,3,0:vw4); (2,0,0,0:vw4); (2,0,1,0:vw4); (2,0,2,0:vw4); (2,0,3,0:vw4); (3,0,0,0:vw4); (3,0,1,0:vw4); (3,0,2,0:vw4); (3,0,3,0:vw4); (4,0,0,0:vw4); (4,0,1,0:vw4); (4,0,2,0:vw4); (4,0,3,0:vw4); (5,0,0,0:vw4); (5,0,1,0:vw4); (5,0,2,0:vw4); (5,0,3,0:vw4); (6,0,0,0:vw4); (6,0,1,0:vw4); (6,0,2,0:vw4); (6,0,3,0:vw4); (7,0,0,0:vw4); (7,0,1,0:vw4); (7,0,2,0:vw4); (7,0,3,0:vw4); (8,0,0,0:vw4); (8,0,1,0:vw4); (8,0,2,0:vw4); (8,0,3,0:vw4); (9,0,0,0:vw4); (9,0,1,0:vw4); (9,0,2,0:vw4) */
/******************************************/

/* calc coords, apply mask, and issue loads (if necessary) */
/* (d1,vc1,d0,vc0)=(0,0,0,0) */
v_cmp_lt_u32 s[54:55], v0, s[sgprSizeI]            // coord0 < size0
v_cmp_lt_u32 s[58:59], v1, s[sgprSizeJ]            // coord1 < size1
s_and_b64 s[58:59], s[54:55], s[58:59]             // in0 && in1
_v_add_lshl_u32 v11, v2, v0, 0x0                   // scaleToBpe: accumulate d0 lower and *= bpe into Cin addr
v_cndmask_b32 v11, -1, v11, s[58:59]               // LDC clip if OOB. offset
_buffer_load_b32 v12, v11, s[sgprSrdC:sgprSrdC+3], 0, offen offset:0,  sc0 sc1 // load C for beta calc
_v_add_lshl_u32 v11, v3, v0, 0x0                   // scaleToBpe: accumulate d0 lower and *= bpe into Cin addr
v_cndmask_b32 v11, -1, v11, s[58:59]               // LDD clip if OOB. offset
/* (d1,vc1,d0,vc0)=(0,1,0,0) */
_v_add_co_u32 v1, vcc, v1, 1                       // coord1.1: coord1Vgpr += d1*sg1*VW + vc1

/* Fix for UseInitialStridesCD, emitAddressSetupCode */
_v_add_u32 v2, v2, s[sgprStrideC1J]                // ROWINC- Move cinRowPtr to next row
_v_add_u32 v3, v3, s[sgprStrideD1J]                // Move coutRowPtr to next row
v_cmp_lt_u32 s[54:55], v0, s[sgprSizeI]            // coord0 < size0
v_cmp_lt_u32 s[58:59], v1, s[sgprSizeJ]            // coord1 < size1
s_and_b64 s[58:59], s[54:55], s[58:59]             // in0 && in1
_v_add_lshl_u32 v13, v2, v0, 0x0                   // scaleToBpe: accumulate d0 lower and *= bpe into Cin addr
v_cndmask_b32 v13, -1, v13, s[58:59]               // LDC clip if OOB. offset
_buffer_load_b32 v14, v13, s[sgprSrdC:sgprSrdC+3], 0, offen offset:0,  sc0 sc1 // load C for beta calc
_v_add_lshl_u32 v13, v3, v0, 0x0                   // scaleToBpe: accumulate d0 lower and *= bpe into Cin addr
v_cndmask_b32 v13, -1, v13, s[58:59]               // LDD clip if OOB. offset
/* (d1,vc1,d0,vc0)=(0,2,0,0) */
_v_add_co_u32 v1, vcc, v1, 1                       // coord1.1: coord1Vgpr += d1*sg1*VW + vc1

/* Fix for UseInitialStridesCD, emitAddressSetupCode */
_v_add_u32 v2, v2, s[sgprStrideC1J]                // ROWINC- Move cinRowPtr to next row
_v_add_u32 v3, v3, s[sgprStrideD1J]                // Move coutRowPtr to next row
v_cmp_lt_u32 s[54:55], v0, s[sgprSizeI]            // coord0 < size0
v_cmp_lt_u32 s[58:59], v1, s[sgprSizeJ]            // coord1 < size1
s_and_b64 s[58:59], s[54:55], s[58:59]             // in0 && in1
_v_add_lshl_u32 v15, v2, v0, 0x0                   // scaleToBpe: accumulate d0 lower and *= bpe into Cin addr
v_cndmask_b32 v15, -1, v15, s[58:59]               // LDC clip if OOB. offset
_buffer_load_b32 v24, v15, s[sgprSrdC:sgprSrdC+3], 0, offen offset:0,  sc0 sc1 // load C for beta calc
_v_add_lshl_u32 v15, v3, v0, 0x0                   // scaleToBpe: accumulate d0 lower and *= bpe into Cin addr
v_cndmask_b32 v15, -1, v15, s[58:59]               // LDD clip if OOB. offset
/* (d1,vc1,d0,vc0)=(0,3,0,0) */
_v_add_co_u32 v1, vcc, v1, 1                       // coord1.1: coord1Vgpr += d1*sg1*VW + vc1

/* Fix for UseInitialStridesCD, emitAddressSetupCode */
_v_add_u32 v2, v2, s[sgprStrideC1J]                // ROWINC- Move cinRowPtr to next row
_v_add_u32 v3, v3, s[sgprStrideD1J]                // Move coutRowPtr to next row
v_cmp_lt_u32 s[54:55], v0, s[sgprSizeI]            // coord0 < size0
v_cmp_lt_u32 s[58:59], v1, s[sgprSizeJ]            // coord1 < size1
s_and_b64 s[58:59], s[54:55], s[58:59]             // in0 && in1
_v_add_lshl_u32 v25, v2, v0, 0x0                   // scaleToBpe: accumulate d0 lower and *= bpe into Cin addr
v_cndmask_b32 v25, -1, v25, s[58:59]               // LDC clip if OOB. offset
_buffer_load_b32 v26, v25, s[sgprSrdC:sgprSrdC+3], 0, offen offset:0,  sc0 sc1 // load C for beta calc
_v_add_lshl_u32 v25, v3, v0, 0x0                   // scaleToBpe: accumulate d0 lower and *= bpe into Cin addr
v_cndmask_b32 v25, -1, v25, s[58:59]               // LDD clip if OOB. offset
/* (d1,vc1,d0,vc0)=(1,0,0,0) */
_v_add_co_u32 v1, vcc, v1, 13                      // coord1.1: coord1Vgpr += d1*sg1*VW + vc1

/* Fix for UseInitialStridesCD, emitAddressSetupCode */
s_mul_i32 s54, s[sgprStrideC1J], 13                // scale stride
_v_add_u32 v2, v2, s54                             // ROWINC- Move cinRowPtr to next row
s_mul_i32 s54, s[sgprStrideD1J], 13                // scale stride
_v_add_u32 v3, v3, s54                             // Move coutRowPtr to next row
v_cmp_lt_u32 s[54:55], v0, s[sgprSizeI]            // coord0 < size0
v_cmp_lt_u32 s[58:59], v1, s[sgprSizeJ]            // coord1 < size1
s_and_b64 s[58:59], s[54:55], s[58:59]             // in0 && in1
_v_add_lshl_u32 v27, v2, v0, 0x0                   // scaleToBpe: accumulate d0 lower and *= bpe into Cin addr
v_cndmask_b32 v27, -1, v27, s[58:59]               // LDC clip if OOB. offset
_buffer_load_b32 v36, v27, s[sgprSrdC:sgprSrdC+3], 0, offen offset:0,  sc0 sc1 // load C for beta calc
_v_add_lshl_u32 v27, v3, v0, 0x0                   // scaleToBpe: accumulate d0 lower and *= bpe into Cin addr
v_cndmask_b32 v27, -1, v27, s[58:59]               // LDD clip if OOB. offset
/* (d1,vc1,d0,vc0)=(1,1,0,0) */
_v_add_co_u32 v1, vcc, v1, 1                       // coord1.1: coord1Vgpr += d1*sg1*VW + vc1

/* Fix for UseInitialStridesCD, emitAddressSetupCode */
_v_add_u32 v2, v2, s[sgprStrideC1J]                // ROWINC- Move cinRowPtr to next row
_v_add_u32 v3, v3, s[sgprStrideD1J]                // Move coutRowPtr to next row
v_cmp_lt_u32 s[54:55], v0, s[sgprSizeI]            // coord0 < size0
v_cmp_lt_u32 s[58:59], v1, s[sgprSizeJ]            // coord1 < size1
s_and_b64 s[58:59], s[54:55], s[58:59]             // in0 && in1
_v_add_lshl_u32 v37, v2, v0, 0x0                   // scaleToBpe: accumulate d0 lower and *= bpe into Cin addr
v_cndmask_b32 v37, -1, v37, s[58:59]               // LDC clip if OOB. offset
_buffer_load_b32 v38, v37, s[sgprSrdC:sgprSrdC+3], 0, offen offset:0,  sc0 sc1 // load C for beta calc
_v_add_lshl_u32 v37, v3, v0, 0x0                   // scaleToBpe: accumulate d0 lower and *= bpe into Cin addr
v_cndmask_b32 v37, -1, v37, s[58:59]               // LDD clip if OOB. offset
/* (d1,vc1,d0,vc0)=(1,2,0,0) */
_v_add_co_u32 v1, vcc, v1, 1                       // coord1.1: coord1Vgpr += d1*sg1*VW + vc1

/* Fix for UseInitialStridesCD, emitAddressSetupCode */
_v_add_u32 v2, v2, s[sgprStrideC1J]                // ROWINC- Move cinRowPtr to next row
_v_add_u32 v3, v3, s[sgprStrideD1J]                // Move coutRowPtr to next row
v_cmp_lt_u32 s[54:55], v0, s[sgprSizeI]            // coord0 < size0
v_cmp_lt_u32 s[58:59], v1, s[sgprSizeJ]            // coord1 < size1
s_and_b64 s[58:59], s[54:55], s[58:59]             // in0 && in1
_v_add_lshl_u32 v39, v2, v0, 0x0                   // scaleToBpe: accumulate d0 lower and *= bpe into Cin addr
v_cndmask_b32 v39, -1, v39, s[58:59]               // LDC clip if OOB. offset
_buffer_load_b32 v48, v39, s[sgprSrdC:sgprSrdC+3], 0, offen offset:0,  sc0 sc1 // load C for beta calc
_v_add_lshl_u32 v39, v3, v0, 0x0                   // scaleToBpe: accumulate d0 lower and *= bpe into Cin addr
v_cndmask_b32 v39, -1, v39, s[58:59]               // LDD clip if OOB. offset
/* (d1,vc1,d0,vc0)=(1,3,0,0) */
_v_add_co_u32 v1, vcc, v1, 1                       // coord1.1: coord1Vgpr += d1*sg1*VW + vc1

/* Fix for UseInitialStridesCD, emitAddressSetupCode */
_v_add_u32 v2, v2, s[sgprStrideC1J]                // ROWINC- Move cinRowPtr to next row
_v_add_u32 v3, v3, s[sgprStrideD1J]                // Move coutRowPtr to next row
v_cmp_lt_u32 s[54:55], v0, s[sgprSizeI]            // coord0 < size0
v_cmp_lt_u32 s[58:59], v1, s[sgprSizeJ]            // coord1 < size1
s_and_b64 s[58:59], s[54:55], s[58:59]             // in0 && in1
_v_add_lshl_u32 v49, v2, v0, 0x0                   // scaleToBpe: accumulate d0 lower and *= bpe into Cin addr
v_cndmask_b32 v49, -1, v49, s[58:59]               // LDC clip if OOB. offset
_buffer_load_b32 v50, v49, s[sgprSrdC:sgprSrdC+3], 0, offen offset:0,  sc0 sc1 // load C for beta calc
_v_add_lshl_u32 v49, v3, v0, 0x0                   // scaleToBpe: accumulate d0 lower and *= bpe into Cin addr
v_cndmask_b32 v49, -1, v49, s[58:59]               // LDD clip if OOB. offset
/* (d1,vc1,d0,vc0)=(2,0,0,0) */
_v_add_co_u32 v1, vcc, v1, 13                      // coord1.1: coord1Vgpr += d1*sg1*VW + vc1

/* Fix for UseInitialStridesCD, emitAddressSetupCode */
s_mul_i32 s54, s[sgprStrideC1J], 13                // scale stride
_v_add_u32 v2, v2, s54                             // ROWINC- Move cinRowPtr to next row
s_mul_i32 s54, s[sgprStrideD1J], 13                // scale stride
_v_add_u32 v3, v3, s54                             // Move coutRowPtr to next row
	;; [unrolled: 58-line block ×4, first 2 shown]
v_cmp_lt_u32 s[54:55], v0, s[sgprSizeI]            // coord0 < size0
v_cmp_lt_u32 s[58:59], v1, s[sgprSizeJ]            // coord1 < size1
s_and_b64 s[58:59], s[54:55], s[58:59]             // in0 && in1
_v_add_lshl_u32 v99, v2, v0, 0x0                   // scaleToBpe: accumulate d0 lower and *= bpe into Cin addr
v_cndmask_b32 v99, -1, v99, s[58:59]               // LDC clip if OOB. offset
_buffer_load_b32 v108, v99, s[sgprSrdC:sgprSrdC+3], 0, offen offset:0,  sc0 sc1 // load C for beta calc
_v_add_lshl_u32 v99, v3, v0, 0x0                   // scaleToBpe: accumulate d0 lower and *= bpe into Cin addr
v_cndmask_b32 v99, -1, v99, s[58:59]               // LDD clip if OOB. offset
/* (d1,vc1,d0,vc0)=(4,1,0,0) */
_v_add_co_u32 v1, vcc, v1, 1                       // coord1.1: coord1Vgpr += d1*sg1*VW + vc1

/* Fix for UseInitialStridesCD, emitAddressSetupCode */
_v_add_u32 v2, v2, s[sgprStrideC1J]                // ROWINC- Move cinRowPtr to next row
_v_add_u32 v3, v3, s[sgprStrideD1J]                // Move coutRowPtr to next row
v_cmp_lt_u32 s[54:55], v0, s[sgprSizeI]            // coord0 < size0
v_cmp_lt_u32 s[58:59], v1, s[sgprSizeJ]            // coord1 < size1
s_and_b64 s[58:59], s[54:55], s[58:59]             // in0 && in1
_v_add_lshl_u32 v109, v2, v0, 0x0                  // scaleToBpe: accumulate d0 lower and *= bpe into Cin addr
v_cndmask_b32 v109, -1, v109, s[58:59]             // LDC clip if OOB. offset
_buffer_load_b32 v110, v109, s[sgprSrdC:sgprSrdC+3], 0, offen offset:0,  sc0 sc1 // load C for beta calc
_v_add_lshl_u32 v109, v3, v0, 0x0                  // scaleToBpe: accumulate d0 lower and *= bpe into Cin addr
v_cndmask_b32 v109, -1, v109, s[58:59]             // LDD clip if OOB. offset
/* (d1,vc1,d0,vc0)=(4,2,0,0) */
_v_add_co_u32 v1, vcc, v1, 1                       // coord1.1: coord1Vgpr += d1*sg1*VW + vc1

/* Fix for UseInitialStridesCD, emitAddressSetupCode */
_v_add_u32 v2, v2, s[sgprStrideC1J]                // ROWINC- Move cinRowPtr to next row
_v_add_u32 v3, v3, s[sgprStrideD1J]                // Move coutRowPtr to next row
v_cmp_lt_u32 s[54:55], v0, s[sgprSizeI]            // coord0 < size0
v_cmp_lt_u32 s[58:59], v1, s[sgprSizeJ]            // coord1 < size1
s_and_b64 s[58:59], s[54:55], s[58:59]             // in0 && in1
_v_add_lshl_u32 v111, v2, v0, 0x0                  // scaleToBpe: accumulate d0 lower and *= bpe into Cin addr
v_cndmask_b32 v111, -1, v111, s[58:59]             // LDC clip if OOB. offset
_buffer_load_b32 v120, v111, s[sgprSrdC:sgprSrdC+3], 0, offen offset:0,  sc0 sc1 // load C for beta calc
_v_add_lshl_u32 v111, v3, v0, 0x0                  // scaleToBpe: accumulate d0 lower and *= bpe into Cin addr
v_cndmask_b32 v111, -1, v111, s[58:59]             // LDD clip if OOB. offset
/* (d1,vc1,d0,vc0)=(4,3,0,0) */
_v_add_co_u32 v1, vcc, v1, 1                       // coord1.1: coord1Vgpr += d1*sg1*VW + vc1

/* Fix for UseInitialStridesCD, emitAddressSetupCode */
_v_add_u32 v2, v2, s[sgprStrideC1J]                // ROWINC- Move cinRowPtr to next row
_v_add_u32 v3, v3, s[sgprStrideD1J]                // Move coutRowPtr to next row
v_cmp_lt_u32 s[54:55], v0, s[sgprSizeI]            // coord0 < size0
v_cmp_lt_u32 s[58:59], v1, s[sgprSizeJ]            // coord1 < size1
s_and_b64 s[58:59], s[54:55], s[58:59]             // in0 && in1
_v_add_lshl_u32 v121, v2, v0, 0x0                  // scaleToBpe: accumulate d0 lower and *= bpe into Cin addr
v_cndmask_b32 v121, -1, v121, s[58:59]             // LDC clip if OOB. offset
_buffer_load_b32 v122, v121, s[sgprSrdC:sgprSrdC+3], 0, offen offset:0,  sc0 sc1 // load C for beta calc
_v_add_lshl_u32 v121, v3, v0, 0x0                  // scaleToBpe: accumulate d0 lower and *= bpe into Cin addr
v_cndmask_b32 v121, -1, v121, s[58:59]             // LDD clip if OOB. offset
/* (d1,vc1,d0,vc0)=(5,0,0,0) */
_v_add_co_u32 v1, vcc, v1, 13                      // coord1.1: coord1Vgpr += d1*sg1*VW + vc1

/* Fix for UseInitialStridesCD, emitAddressSetupCode */
s_mul_i32 s54, s[sgprStrideC1J], 13                // scale stride
_v_add_u32 v2, v2, s54                             // ROWINC- Move cinRowPtr to next row
s_mul_i32 s54, s[sgprStrideD1J], 13                // scale stride
_v_add_u32 v3, v3, s54                             // Move coutRowPtr to next row
v_cmp_lt_u32 s[54:55], v0, s[sgprSizeI]            // coord0 < size0
v_cmp_lt_u32 s[58:59], v1, s[sgprSizeJ]            // coord1 < size1
s_and_b64 s[58:59], s[54:55], s[58:59]             // in0 && in1
_v_add_lshl_u32 v123, v2, v0, 0x0                  // scaleToBpe: accumulate d0 lower and *= bpe into Cin addr
v_cndmask_b32 v123, -1, v123, s[58:59]             // LDC clip if OOB. offset
_buffer_load_b32 v136, v123, s[sgprSrdC:sgprSrdC+3], 0, offen offset:0,  sc0 sc1 // load C for beta calc
_v_add_lshl_u32 v123, v3, v0, 0x0                  // scaleToBpe: accumulate d0 lower and *= bpe into Cin addr
v_cndmask_b32 v123, -1, v123, s[58:59]             // LDD clip if OOB. offset
/* (d1,vc1,d0,vc0)=(5,1,0,0) */
_v_add_co_u32 v1, vcc, v1, 1                       // coord1.1: coord1Vgpr += d1*sg1*VW + vc1

/* Fix for UseInitialStridesCD, emitAddressSetupCode */
_v_add_u32 v2, v2, s[sgprStrideC1J]                // ROWINC- Move cinRowPtr to next row
_v_add_u32 v3, v3, s[sgprStrideD1J]                // Move coutRowPtr to next row
v_cmp_lt_u32 s[54:55], v0, s[sgprSizeI]            // coord0 < size0
v_cmp_lt_u32 s[58:59], v1, s[sgprSizeJ]            // coord1 < size1
s_and_b64 s[58:59], s[54:55], s[58:59]             // in0 && in1
_v_add_lshl_u32 v137, v2, v0, 0x0                  // scaleToBpe: accumulate d0 lower and *= bpe into Cin addr
v_cndmask_b32 v137, -1, v137, s[58:59]             // LDC clip if OOB. offset
_buffer_load_b32 v138, v137, s[sgprSrdC:sgprSrdC+3], 0, offen offset:0,  sc0 sc1 // load C for beta calc
_v_add_lshl_u32 v137, v3, v0, 0x0                  // scaleToBpe: accumulate d0 lower and *= bpe into Cin addr
v_cndmask_b32 v137, -1, v137, s[58:59]             // LDD clip if OOB. offset
/* (d1,vc1,d0,vc0)=(5,2,0,0) */
_v_add_co_u32 v1, vcc, v1, 1                       // coord1.1: coord1Vgpr += d1*sg1*VW + vc1

/* Fix for UseInitialStridesCD, emitAddressSetupCode */
_v_add_u32 v2, v2, s[sgprStrideC1J]                // ROWINC- Move cinRowPtr to next row
_v_add_u32 v3, v3, s[sgprStrideD1J]                // Move coutRowPtr to next row
v_cmp_lt_u32 s[54:55], v0, s[sgprSizeI]            // coord0 < size0
v_cmp_lt_u32 s[58:59], v1, s[sgprSizeJ]            // coord1 < size1
s_and_b64 s[58:59], s[54:55], s[58:59]             // in0 && in1
_v_add_lshl_u32 v139, v2, v0, 0x0                  // scaleToBpe: accumulate d0 lower and *= bpe into Cin addr
v_cndmask_b32 v139, -1, v139, s[58:59]             // LDC clip if OOB. offset
_buffer_load_b32 v148, v139, s[sgprSrdC:sgprSrdC+3], 0, offen offset:0,  sc0 sc1 // load C for beta calc
_v_add_lshl_u32 v139, v3, v0, 0x0                  // scaleToBpe: accumulate d0 lower and *= bpe into Cin addr
v_cndmask_b32 v139, -1, v139, s[58:59]             // LDD clip if OOB. offset
/* (d1,vc1,d0,vc0)=(5,3,0,0) */
_v_add_co_u32 v1, vcc, v1, 1                       // coord1.1: coord1Vgpr += d1*sg1*VW + vc1

/* Fix for UseInitialStridesCD, emitAddressSetupCode */
_v_add_u32 v2, v2, s[sgprStrideC1J]                // ROWINC- Move cinRowPtr to next row
_v_add_u32 v3, v3, s[sgprStrideD1J]                // Move coutRowPtr to next row
v_cmp_lt_u32 s[54:55], v0, s[sgprSizeI]            // coord0 < size0
v_cmp_lt_u32 s[58:59], v1, s[sgprSizeJ]            // coord1 < size1
s_and_b64 s[58:59], s[54:55], s[58:59]             // in0 && in1
_v_add_lshl_u32 v149, v2, v0, 0x0                  // scaleToBpe: accumulate d0 lower and *= bpe into Cin addr
v_cndmask_b32 v149, -1, v149, s[58:59]             // LDC clip if OOB. offset
_buffer_load_b32 v150, v149, s[sgprSrdC:sgprSrdC+3], 0, offen offset:0,  sc0 sc1 // load C for beta calc
_v_add_lshl_u32 v149, v3, v0, 0x0                  // scaleToBpe: accumulate d0 lower and *= bpe into Cin addr
v_cndmask_b32 v149, -1, v149, s[58:59]             // LDD clip if OOB. offset
/* (d1,vc1,d0,vc0)=(6,0,0,0) */
_v_add_co_u32 v1, vcc, v1, 13                      // coord1.1: coord1Vgpr += d1*sg1*VW + vc1

/* Fix for UseInitialStridesCD, emitAddressSetupCode */
s_mul_i32 s54, s[sgprStrideC1J], 13                // scale stride
_v_add_u32 v2, v2, s54                             // ROWINC- Move cinRowPtr to next row
s_mul_i32 s54, s[sgprStrideD1J], 13                // scale stride
_v_add_u32 v3, v3, s54                             // Move coutRowPtr to next row
v_cmp_lt_u32 s[54:55], v0, s[sgprSizeI]            // coord0 < size0
v_cmp_lt_u32 s[58:59], v1, s[sgprSizeJ]            // coord1 < size1
s_and_b64 s[58:59], s[54:55], s[58:59]             // in0 && in1
_v_add_lshl_u32 v151, v2, v0, 0x0                  // scaleToBpe: accumulate d0 lower and *= bpe into Cin addr
v_cndmask_b32 v151, -1, v151, s[58:59]             // LDC clip if OOB. offset
_buffer_load_b32 v160, v151, s[sgprSrdC:sgprSrdC+3], 0, offen offset:0,  sc0 sc1 // load C for beta calc
_v_add_lshl_u32 v151, v3, v0, 0x0                  // scaleToBpe: accumulate d0 lower and *= bpe into Cin addr
v_cndmask_b32 v151, -1, v151, s[58:59]             // LDD clip if OOB. offset
	;; [unrolled: 58-line block ×5, first 2 shown]
/* (d1,vc1,d0,vc0)=(9,1,0,0) */
_v_add_co_u32 v1, vcc, v1, 1                       // coord1.1: coord1Vgpr += d1*sg1*VW + vc1

/* Fix for UseInitialStridesCD, emitAddressSetupCode */
_v_add_u32 v2, v2, s[sgprStrideC1J]                // ROWINC- Move cinRowPtr to next row
_v_add_u32 v3, v3, s[sgprStrideD1J]                // Move coutRowPtr to next row
v_cmp_lt_u32 s[54:55], v0, s[sgprSizeI]            // coord0 < size0
v_cmp_lt_u32 s[58:59], v1, s[sgprSizeJ]            // coord1 < size1
s_and_b64 s[58:59], s[54:55], s[58:59]             // in0 && in1
_v_add_lshl_u32 v233, v2, v0, 0x0                  // scaleToBpe: accumulate d0 lower and *= bpe into Cin addr
v_cndmask_b32 v233, -1, v233, s[58:59]             // LDC clip if OOB. offset
_buffer_load_b32 v234, v233, s[sgprSrdC:sgprSrdC+3], 0, offen offset:0,  sc0 sc1 // load C for beta calc
_v_add_lshl_u32 v233, v3, v0, 0x0                  // scaleToBpe: accumulate d0 lower and *= bpe into Cin addr
v_cndmask_b32 v233, -1, v233, s[58:59]             // LDD clip if OOB. offset
/* (d1,vc1,d0,vc0)=(9,2,0,0) */
_v_add_co_u32 v1, vcc, v1, 1                       // coord1.1: coord1Vgpr += d1*sg1*VW + vc1

/* Fix for UseInitialStridesCD, emitAddressSetupCode */
_v_add_u32 v2, v2, s[sgprStrideC1J]                // ROWINC- Move cinRowPtr to next row
_v_add_u32 v3, v3, s[sgprStrideD1J]                // Move coutRowPtr to next row
v_cmp_lt_u32 s[54:55], v0, s[sgprSizeI]            // coord0 < size0
v_cmp_lt_u32 s[58:59], v1, s[sgprSizeJ]            // coord1 < size1
s_and_b64 s[58:59], s[54:55], s[58:59]             // in0 && in1
_v_add_lshl_u32 v235, v2, v0, 0x0                  // scaleToBpe: accumulate d0 lower and *= bpe into Cin addr
v_cndmask_b32 v235, -1, v235, s[58:59]             // LDC clip if OOB. offset
_buffer_load_b32 v244, v235, s[sgprSrdC:sgprSrdC+3], 0, offen offset:0,  sc0 sc1 // load C for beta calc
_v_add_lshl_u32 v235, v3, v0, 0x0                  // scaleToBpe: accumulate d0 lower and *= bpe into Cin addr
v_cndmask_b32 v235, -1, v235, s[58:59]             // LDD clip if OOB. offset
s_sleep 3 // optimization: sync and wait
s_barrier
v_accvgpr_read_b32 v[vgprValuC+16], acc0 // copy acc to vreg[0]
v_accvgpr_read_b32 v[vgprValuC+17], acc4 // copy acc to vreg[1]
v_accvgpr_read_b32 v[vgprValuC+18], acc8 // copy acc to vreg[2]
v_accvgpr_read_b32 v[vgprValuC+19], acc12 // copy acc to vreg[3]
v_accvgpr_read_b32 v[vgprValuC+20], acc1 // copy acc to vreg[4]
v_accvgpr_read_b32 v[vgprValuC+21], acc5 // copy acc to vreg[5]
v_accvgpr_read_b32 v[vgprValuC+22], acc9 // copy acc to vreg[6]
v_accvgpr_read_b32 v[vgprValuC+23], acc13 // copy acc to vreg[7]
v_accvgpr_read_b32 v[vgprValuC+28], acc2 // copy acc to vreg[8]
v_accvgpr_read_b32 v[vgprValuC+29], acc6 // copy acc to vreg[9]
v_accvgpr_read_b32 v[vgprValuC+30], acc10 // copy acc to vreg[10]
v_accvgpr_read_b32 v[vgprValuC+31], acc14 // copy acc to vreg[11]
v_accvgpr_read_b32 v[vgprValuC+32], acc3 // copy acc to vreg[12]
v_accvgpr_read_b32 v[vgprValuC+33], acc7 // copy acc to vreg[13]
v_accvgpr_read_b32 v[vgprValuC+34], acc11 // copy acc to vreg[14]
v_accvgpr_read_b32 v[vgprValuC+35], acc15 // copy acc to vreg[15]
v_accvgpr_read_b32 v[vgprValuC+40], acc16 // copy acc to vreg[16]
v_accvgpr_read_b32 v[vgprValuC+41], acc20 // copy acc to vreg[17]
v_accvgpr_read_b32 v[vgprValuC+42], acc24 // copy acc to vreg[18]
v_accvgpr_read_b32 v[vgprValuC+43], acc28 // copy acc to vreg[19]
v_accvgpr_read_b32 v[vgprValuC+44], acc17 // copy acc to vreg[20]
v_accvgpr_read_b32 v[vgprValuC+45], acc21 // copy acc to vreg[21]
v_accvgpr_read_b32 v[vgprValuC+46], acc25 // copy acc to vreg[22]
v_accvgpr_read_b32 v[vgprValuC+47], acc29 // copy acc to vreg[23]
v_accvgpr_read_b32 v[vgprValuC+52], acc18 // copy acc to vreg[24]
v_accvgpr_read_b32 v[vgprValuC+53], acc22 // copy acc to vreg[25]
v_accvgpr_read_b32 v[vgprValuC+54], acc26 // copy acc to vreg[26]
v_accvgpr_read_b32 v[vgprValuC+55], acc30 // copy acc to vreg[27]
v_accvgpr_read_b32 v[vgprValuC+56], acc19 // copy acc to vreg[28]
v_accvgpr_read_b32 v[vgprValuC+57], acc23 // copy acc to vreg[29]
v_accvgpr_read_b32 v[vgprValuC+58], acc27 // copy acc to vreg[30]
v_accvgpr_read_b32 v[vgprValuC+59], acc31 // copy acc to vreg[31]
v_accvgpr_read_b32 v[vgprValuC+64], acc32 // copy acc to vreg[32]
v_accvgpr_read_b32 v[vgprValuC+65], acc36 // copy acc to vreg[33]
v_accvgpr_read_b32 v[vgprValuC+66], acc40 // copy acc to vreg[34]
v_accvgpr_read_b32 v[vgprValuC+67], acc44 // copy acc to vreg[35]
v_accvgpr_read_b32 v[vgprValuC+68], acc33 // copy acc to vreg[36]
v_accvgpr_read_b32 v[vgprValuC+69], acc37 // copy acc to vreg[37]
v_accvgpr_read_b32 v[vgprValuC+70], acc41 // copy acc to vreg[38]
v_accvgpr_read_b32 v[vgprValuC+71], acc45 // copy acc to vreg[39]
v_accvgpr_read_b32 v[vgprValuC+76], acc34 // copy acc to vreg[40]
v_accvgpr_read_b32 v[vgprValuC+77], acc38 // copy acc to vreg[41]
v_accvgpr_read_b32 v[vgprValuC+78], acc42 // copy acc to vreg[42]
v_accvgpr_read_b32 v[vgprValuC+79], acc46 // copy acc to vreg[43]
v_accvgpr_read_b32 v[vgprValuC+80], acc35 // copy acc to vreg[44]
v_accvgpr_read_b32 v[vgprValuC+81], acc39 // copy acc to vreg[45]
v_accvgpr_read_b32 v[vgprValuC+82], acc43 // copy acc to vreg[46]
v_accvgpr_read_b32 v[vgprValuC+83], acc47 // copy acc to vreg[47]
v_accvgpr_read_b32 v[vgprValuC+88], acc48 // copy acc to vreg[48]
v_accvgpr_read_b32 v[vgprValuC+89], acc52 // copy acc to vreg[49]
v_accvgpr_read_b32 v[vgprValuC+90], acc56 // copy acc to vreg[50]
v_accvgpr_read_b32 v[vgprValuC+91], acc60 // copy acc to vreg[51]
v_accvgpr_read_b32 v[vgprValuC+92], acc49 // copy acc to vreg[52]
v_accvgpr_read_b32 v[vgprValuC+93], acc53 // copy acc to vreg[53]
v_accvgpr_read_b32 v[vgprValuC+94], acc57 // copy acc to vreg[54]
v_accvgpr_read_b32 v[vgprValuC+95], acc61 // copy acc to vreg[55]
v_accvgpr_read_b32 v[vgprValuC+100], acc50 // copy acc to vreg[56]
v_accvgpr_read_b32 v[vgprValuC+101], acc54 // copy acc to vreg[57]
v_accvgpr_read_b32 v[vgprValuC+102], acc58 // copy acc to vreg[58]
v_accvgpr_read_b32 v[vgprValuC+103], acc62 // copy acc to vreg[59]
v_accvgpr_read_b32 v[vgprValuC+104], acc51 // copy acc to vreg[60]
v_accvgpr_read_b32 v[vgprValuC+105], acc55 // copy acc to vreg[61]
v_accvgpr_read_b32 v[vgprValuC+106], acc59 // copy acc to vreg[62]
v_accvgpr_read_b32 v[vgprValuC+107], acc63 // copy acc to vreg[63]
v_accvgpr_read_b32 v[vgprValuC+112], acc64 // copy acc to vreg[64]
v_accvgpr_read_b32 v[vgprValuC+113], acc68 // copy acc to vreg[65]
v_accvgpr_read_b32 v[vgprValuC+114], acc72 // copy acc to vreg[66]
v_accvgpr_read_b32 v[vgprValuC+115], acc76 // copy acc to vreg[67]
v_accvgpr_read_b32 v[vgprValuC+116], acc65 // copy acc to vreg[68]
v_accvgpr_read_b32 v[vgprValuC+117], acc69 // copy acc to vreg[69]
v_accvgpr_read_b32 v[vgprValuC+118], acc73 // copy acc to vreg[70]
v_accvgpr_read_b32 v[vgprValuC+119], acc77 // copy acc to vreg[71]
v_accvgpr_read_b32 v[vgprValuC+128], acc66 // copy acc to vreg[72]
v_accvgpr_read_b32 v[vgprValuC+129], acc70 // copy acc to vreg[73]
v_accvgpr_read_b32 v[vgprValuC+130], acc74 // copy acc to vreg[74]
v_accvgpr_read_b32 v[vgprValuC+131], acc78 // copy acc to vreg[75]
v_accvgpr_read_b32 v[vgprValuC+132], acc67 // copy acc to vreg[76]
v_accvgpr_read_b32 v[vgprValuC+133], acc71 // copy acc to vreg[77]
v_accvgpr_read_b32 v[vgprValuC+134], acc75 // copy acc to vreg[78]
v_accvgpr_read_b32 v[vgprValuC+135], acc79 // copy acc to vreg[79]
v_accvgpr_read_b32 v[vgprValuC+140], acc80 // copy acc to vreg[80]
v_accvgpr_read_b32 v[vgprValuC+141], acc84 // copy acc to vreg[81]
v_accvgpr_read_b32 v[vgprValuC+142], acc88 // copy acc to vreg[82]
v_accvgpr_read_b32 v[vgprValuC+143], acc92 // copy acc to vreg[83]
v_accvgpr_read_b32 v[vgprValuC+144], acc81 // copy acc to vreg[84]
v_accvgpr_read_b32 v[vgprValuC+145], acc85 // copy acc to vreg[85]
v_accvgpr_read_b32 v[vgprValuC+146], acc89 // copy acc to vreg[86]
v_accvgpr_read_b32 v[vgprValuC+147], acc93 // copy acc to vreg[87]
v_accvgpr_read_b32 v[vgprValuC+152], acc82 // copy acc to vreg[88]
v_accvgpr_read_b32 v[vgprValuC+153], acc86 // copy acc to vreg[89]
v_accvgpr_read_b32 v[vgprValuC+154], acc90 // copy acc to vreg[90]
v_accvgpr_read_b32 v[vgprValuC+155], acc94 // copy acc to vreg[91]
v_accvgpr_read_b32 v[vgprValuC+156], acc83 // copy acc to vreg[92]
v_accvgpr_read_b32 v[vgprValuC+157], acc87 // copy acc to vreg[93]
v_accvgpr_read_b32 v[vgprValuC+158], acc91 // copy acc to vreg[94]
v_accvgpr_read_b32 v[vgprValuC+159], acc95 // copy acc to vreg[95]
v_accvgpr_read_b32 v[vgprValuC+164], acc96 // copy acc to vreg[96]
v_accvgpr_read_b32 v[vgprValuC+165], acc100 // copy acc to vreg[97]
v_accvgpr_read_b32 v[vgprValuC+166], acc104 // copy acc to vreg[98]
v_accvgpr_read_b32 v[vgprValuC+167], acc108 // copy acc to vreg[99]
v_accvgpr_read_b32 v[vgprValuC+168], acc97 // copy acc to vreg[100]
v_accvgpr_read_b32 v[vgprValuC+169], acc101 // copy acc to vreg[101]
v_accvgpr_read_b32 v[vgprValuC+170], acc105 // copy acc to vreg[102]
v_accvgpr_read_b32 v[vgprValuC+171], acc109 // copy acc to vreg[103]
v_accvgpr_read_b32 v[vgprValuC+176], acc98 // copy acc to vreg[104]
v_accvgpr_read_b32 v[vgprValuC+177], acc102 // copy acc to vreg[105]
v_accvgpr_read_b32 v[vgprValuC+178], acc106 // copy acc to vreg[106]
v_accvgpr_read_b32 v[vgprValuC+179], acc110 // copy acc to vreg[107]
v_accvgpr_read_b32 v[vgprValuC+180], acc99 // copy acc to vreg[108]
v_accvgpr_read_b32 v[vgprValuC+181], acc103 // copy acc to vreg[109]
v_accvgpr_read_b32 v[vgprValuC+182], acc107 // copy acc to vreg[110]
v_accvgpr_read_b32 v[vgprValuC+183], acc111 // copy acc to vreg[111]
v_accvgpr_read_b32 v[vgprValuC+188], acc112 // copy acc to vreg[112]
v_accvgpr_read_b32 v[vgprValuC+189], acc116 // copy acc to vreg[113]
v_accvgpr_read_b32 v[vgprValuC+190], acc120 // copy acc to vreg[114]
v_accvgpr_read_b32 v[vgprValuC+191], acc124 // copy acc to vreg[115]
v_accvgpr_read_b32 v[vgprValuC+192], acc113 // copy acc to vreg[116]
v_accvgpr_read_b32 v[vgprValuC+193], acc117 // copy acc to vreg[117]
v_accvgpr_read_b32 v[vgprValuC+194], acc121 // copy acc to vreg[118]
v_accvgpr_read_b32 v[vgprValuC+195], acc125 // copy acc to vreg[119]
v_accvgpr_read_b32 v[vgprValuC+200], acc114 // copy acc to vreg[120]
v_accvgpr_read_b32 v[vgprValuC+201], acc118 // copy acc to vreg[121]
v_accvgpr_read_b32 v[vgprValuC+202], acc122 // copy acc to vreg[122]
v_accvgpr_read_b32 v[vgprValuC+203], acc126 // copy acc to vreg[123]
v_accvgpr_read_b32 v[vgprValuC+204], acc115 // copy acc to vreg[124]
v_accvgpr_read_b32 v[vgprValuC+205], acc119 // copy acc to vreg[125]
v_accvgpr_read_b32 v[vgprValuC+206], acc123 // copy acc to vreg[126]
v_accvgpr_read_b32 v[vgprValuC+207], acc127 // copy acc to vreg[127]
v_accvgpr_read_b32 v[vgprValuC+212], acc128 // copy acc to vreg[128]
v_accvgpr_read_b32 v[vgprValuC+213], acc132 // copy acc to vreg[129]
v_accvgpr_read_b32 v[vgprValuC+214], acc136 // copy acc to vreg[130]
v_accvgpr_read_b32 v[vgprValuC+215], acc140 // copy acc to vreg[131]
v_accvgpr_read_b32 v[vgprValuC+216], acc129 // copy acc to vreg[132]
v_accvgpr_read_b32 v[vgprValuC+217], acc133 // copy acc to vreg[133]
v_accvgpr_read_b32 v[vgprValuC+218], acc137 // copy acc to vreg[134]
v_accvgpr_read_b32 v[vgprValuC+219], acc141 // copy acc to vreg[135]
v_accvgpr_read_b32 v[vgprValuC+224], acc130 // copy acc to vreg[136]
v_accvgpr_read_b32 v[vgprValuC+225], acc134 // copy acc to vreg[137]
v_accvgpr_read_b32 v[vgprValuC+226], acc138 // copy acc to vreg[138]
v_accvgpr_read_b32 v[vgprValuC+227], acc142 // copy acc to vreg[139]
v_accvgpr_read_b32 v[vgprValuC+228], acc131 // copy acc to vreg[140]
v_accvgpr_read_b32 v[vgprValuC+229], acc135 // copy acc to vreg[141]
v_accvgpr_read_b32 v[vgprValuC+230], acc139 // copy acc to vreg[142]
v_accvgpr_read_b32 v[vgprValuC+231], acc143 // copy acc to vreg[143]
v_accvgpr_read_b32 v[vgprValuC+236], acc144 // copy acc to vreg[144]
v_accvgpr_read_b32 v[vgprValuC+237], acc148 // copy acc to vreg[145]
v_accvgpr_read_b32 v[vgprValuC+238], acc152 // copy acc to vreg[146]
v_accvgpr_read_b32 v[vgprValuC+239], acc156 // copy acc to vreg[147]
v_accvgpr_read_b32 v[vgprValuC+240], acc145 // copy acc to vreg[148]
v_accvgpr_read_b32 v[vgprValuC+241], acc149 // copy acc to vreg[149]
v_accvgpr_read_b32 v[vgprValuC+242], acc153 // copy acc to vreg[150]
v_accvgpr_read_b32 v[vgprValuC+243], acc157 // copy acc to vreg[151]
v_accvgpr_read_b32 v[vgprValuC+248], acc146 // copy acc to vreg[152]
v_accvgpr_read_b32 v[vgprValuC+249], acc150 // copy acc to vreg[153]
v_accvgpr_read_b32 v[vgprValuC+250], acc154 // copy acc to vreg[154]
v_accvgpr_read_b32 v[vgprValuC+251], acc158 // copy acc to vreg[155]
s_nop 1                                            // 2 wait states required before reading vgpr

/* rC *= alpha batchElements=[(0, 0, 0, 0), (0, 0, 1, 0), (0, 0, 2, 0), (0, 0, 3, 0), (1, 0, 0, 0), (1, 0, 1, 0), (1, 0, 2, 0), (1, 0, 3, 0), (2, 0, 0, 0), (2, 0, 1, 0), (2, 0, 2, 0), (2, 0, 3, 0), (3, 0, 0, 0), (3, 0, 1, 0), (3, 0, 2, 0), (3, 0, 3, 0), (4, 0, 0, 0), (4, 0, 1, 0), (4, 0, 2, 0), (4, 0, 3, 0), (5, 0, 0, 0), (5, 0, 1, 0), (5, 0, 2, 0), (5, 0, 3, 0), (6, 0, 0, 0), (6, 0, 1, 0), (6, 0, 2, 0), (6, 0, 3, 0), (7, 0, 0, 0), (7, 0, 1, 0), (7, 0, 2, 0), (7, 0, 3, 0), (8, 0, 0, 0), (8, 0, 1, 0), (8, 0, 2, 0), (8, 0, 3, 0), (9, 0, 0, 0), (9, 0, 1, 0), (9, 0, 2, 0)] */
v_mul_f32 v[vgprValuC+16], s[sgprAlpha], v[vgprValuC+16] // *= alpha
v_mul_f32 v[vgprValuC+17], s[sgprAlpha], v[vgprValuC+17] // *= alpha
	;; [unrolled: 1-line block ×156, first 2 shown]
s_waitcnt vmcnt(0)                                 // wait C

/* apply mask, calc new C and issue writes */
v_mov_b32 v10, 0x207                               // flag for Nan and +/- inf
v_mov_b32 v8, 0x47600000                           // save 57344.0f as max for clipping
v_mov_b32 v9, 0xC7600000                           // save -57344`.0f as min for clipping
V_cvt_pk_f32_bf8 v[6:7], v12    // convert two f8 in lo_16 to f32
_v_mac_f32 v[vgprValuC+16], v6, s[sgprBeta]        // finalSum = sum*alpha + C*beta
_v_mac_f32 v[vgprValuC+17], v7, s[sgprBeta]        // finalSum = sum*alpha + C*beta
V_cvt_pk_f32_bf8 v[6:7], v12  src0_sel:WORD_1  // convert two f8 in hi_16 to f32
_v_mac_f32 v[vgprValuC+18], v6, s[sgprBeta]        // finalSum = sum*alpha + C*beta
_v_mac_f32 v[vgprValuC+19], v7, s[sgprBeta]        // finalSum = sum*alpha + C*beta
v_cmp_class_f32 s[54:55], v[vgprValuC+16], v10     // check NaN and +/-INF
v_med3_f32 v6, v[vgprValuC+16], v8, v9             // Clipping f32 value if exceeds the limit
v_cndmask_b32 v6, v6, v[vgprValuC+16], s[54:55]    // 
v_cmp_class_f32 s[54:55], v[vgprValuC+17], v10     // check NaN and +/-INF
v_med3_f32 v7, v[vgprValuC+17], v8, v9             // Clipping f32 value if exceeds the limit
v_cndmask_b32 v7, v7, v[vgprValuC+17], s[54:55]    // 
v_cvt_pk_bf8_f32  v16, v6, v7 op_sel:[0,0,0]       // convert two f32 accumulated values to fp8 and save it to lo_16[0:15]
v_cmp_class_f32 s[54:55], v[vgprValuC+18], v10     // check NaN and +/-INF
v_med3_f32 v6, v[vgprValuC+18], v8, v9             // Clipping f32 value if exceeds the limit
v_cndmask_b32 v6, v6, v[vgprValuC+18], s[54:55]    // 
v_cmp_class_f32 s[54:55], v[vgprValuC+19], v10     // check NaN and +/-INF
v_med3_f32 v7, v[vgprValuC+19], v8, v9             // Clipping f32 value if exceeds the limit
v_cndmask_b32 v7, v7, v[vgprValuC+19], s[54:55]    // 
v_cvt_pk_bf8_f32  v16, v6, v7 op_sel:[0,0,1]       // convert two f32 accumulated values to fp8 and save it to hi_16[16:31]
_buffer_store_b32 v16, v11, s[sgprSrdD:sgprSrdD+3], 0, offen, offset:0,  sc0 sc1 // store D
V_cvt_pk_f32_bf8 v[6:7], v14    // convert two f8 in lo_16 to f32
_v_mac_f32 v[vgprValuC+20], v6, s[sgprBeta]        // finalSum = sum*alpha + C*beta
_v_mac_f32 v[vgprValuC+21], v7, s[sgprBeta]        // finalSum = sum*alpha + C*beta
V_cvt_pk_f32_bf8 v[6:7], v14  src0_sel:WORD_1  // convert two f8 in hi_16 to f32
_v_mac_f32 v[vgprValuC+22], v6, s[sgprBeta]        // finalSum = sum*alpha + C*beta
_v_mac_f32 v[vgprValuC+23], v7, s[sgprBeta]        // finalSum = sum*alpha + C*beta
v_cmp_class_f32 s[54:55], v[vgprValuC+20], v10     // check NaN and +/-INF
v_med3_f32 v6, v[vgprValuC+20], v8, v9             // Clipping f32 value if exceeds the limit
v_cndmask_b32 v6, v6, v[vgprValuC+20], s[54:55]    // 
v_cmp_class_f32 s[54:55], v[vgprValuC+21], v10     // check NaN and +/-INF
v_med3_f32 v7, v[vgprValuC+21], v8, v9             // Clipping f32 value if exceeds the limit
v_cndmask_b32 v7, v7, v[vgprValuC+21], s[54:55]    // 
v_cvt_pk_bf8_f32  v20, v6, v7 op_sel:[0,0,0]       // convert two f32 accumulated values to fp8 and save it to lo_16[0:15]
v_cmp_class_f32 s[54:55], v[vgprValuC+22], v10     // check NaN and +/-INF
v_med3_f32 v6, v[vgprValuC+22], v8, v9             // Clipping f32 value if exceeds the limit
v_cndmask_b32 v6, v6, v[vgprValuC+22], s[54:55]    // 
v_cmp_class_f32 s[54:55], v[vgprValuC+23], v10     // check NaN and +/-INF
v_med3_f32 v7, v[vgprValuC+23], v8, v9             // Clipping f32 value if exceeds the limit
v_cndmask_b32 v7, v7, v[vgprValuC+23], s[54:55]    // 
v_cvt_pk_bf8_f32  v20, v6, v7 op_sel:[0,0,1]       // convert two f32 accumulated values to fp8 and save it to hi_16[16:31]
_buffer_store_b32 v20, v13, s[sgprSrdD:sgprSrdD+3], 0, offen, offset:0,  sc0 sc1 // store D
V_cvt_pk_f32_bf8 v[6:7], v24    // convert two f8 in lo_16 to f32
_v_mac_f32 v[vgprValuC+28], v6, s[sgprBeta]        // finalSum = sum*alpha + C*beta
_v_mac_f32 v[vgprValuC+29], v7, s[sgprBeta]        // finalSum = sum*alpha + C*beta
V_cvt_pk_f32_bf8 v[6:7], v24  src0_sel:WORD_1  // convert two f8 in hi_16 to f32
_v_mac_f32 v[vgprValuC+30], v6, s[sgprBeta]        // finalSum = sum*alpha + C*beta
_v_mac_f32 v[vgprValuC+31], v7, s[sgprBeta]        // finalSum = sum*alpha + C*beta
v_cmp_class_f32 s[54:55], v[vgprValuC+28], v10     // check NaN and +/-INF
v_med3_f32 v6, v[vgprValuC+28], v8, v9             // Clipping f32 value if exceeds the limit
v_cndmask_b32 v6, v6, v[vgprValuC+28], s[54:55]    // 
v_cmp_class_f32 s[54:55], v[vgprValuC+29], v10     // check NaN and +/-INF
v_med3_f32 v7, v[vgprValuC+29], v8, v9             // Clipping f32 value if exceeds the limit
v_cndmask_b32 v7, v7, v[vgprValuC+29], s[54:55]    // 
v_cvt_pk_bf8_f32  v28, v6, v7 op_sel:[0,0,0]       // convert two f32 accumulated values to fp8 and save it to lo_16[0:15]
v_cmp_class_f32 s[54:55], v[vgprValuC+30], v10     // check NaN and +/-INF
v_med3_f32 v6, v[vgprValuC+30], v8, v9             // Clipping f32 value if exceeds the limit
v_cndmask_b32 v6, v6, v[vgprValuC+30], s[54:55]    // 
v_cmp_class_f32 s[54:55], v[vgprValuC+31], v10     // check NaN and +/-INF
v_med3_f32 v7, v[vgprValuC+31], v8, v9             // Clipping f32 value if exceeds the limit
v_cndmask_b32 v7, v7, v[vgprValuC+31], s[54:55]    // 
v_cvt_pk_bf8_f32  v28, v6, v7 op_sel:[0,0,1]       // convert two f32 accumulated values to fp8 and save it to hi_16[16:31]
_buffer_store_b32 v28, v15, s[sgprSrdD:sgprSrdD+3], 0, offen, offset:0,  sc0 sc1 // store D
V_cvt_pk_f32_bf8 v[6:7], v26    // convert two f8 in lo_16 to f32
_v_mac_f32 v[vgprValuC+32], v6, s[sgprBeta]        // finalSum = sum*alpha + C*beta
_v_mac_f32 v[vgprValuC+33], v7, s[sgprBeta]        // finalSum = sum*alpha + C*beta
V_cvt_pk_f32_bf8 v[6:7], v26  src0_sel:WORD_1  // convert two f8 in hi_16 to f32
_v_mac_f32 v[vgprValuC+34], v6, s[sgprBeta]        // finalSum = sum*alpha + C*beta
_v_mac_f32 v[vgprValuC+35], v7, s[sgprBeta]        // finalSum = sum*alpha + C*beta
v_cmp_class_f32 s[54:55], v[vgprValuC+32], v10     // check NaN and +/-INF
v_med3_f32 v6, v[vgprValuC+32], v8, v9             // Clipping f32 value if exceeds the limit
v_cndmask_b32 v6, v6, v[vgprValuC+32], s[54:55]    // 
v_cmp_class_f32 s[54:55], v[vgprValuC+33], v10     // check NaN and +/-INF
v_med3_f32 v7, v[vgprValuC+33], v8, v9             // Clipping f32 value if exceeds the limit
v_cndmask_b32 v7, v7, v[vgprValuC+33], s[54:55]    // 
v_cvt_pk_bf8_f32  v32, v6, v7 op_sel:[0,0,0]       // convert two f32 accumulated values to fp8 and save it to lo_16[0:15]
v_cmp_class_f32 s[54:55], v[vgprValuC+34], v10     // check NaN and +/-INF
v_med3_f32 v6, v[vgprValuC+34], v8, v9             // Clipping f32 value if exceeds the limit
v_cndmask_b32 v6, v6, v[vgprValuC+34], s[54:55]    // 
v_cmp_class_f32 s[54:55], v[vgprValuC+35], v10     // check NaN and +/-INF
v_med3_f32 v7, v[vgprValuC+35], v8, v9             // Clipping f32 value if exceeds the limit
v_cndmask_b32 v7, v7, v[vgprValuC+35], s[54:55]    // 
v_cvt_pk_bf8_f32  v32, v6, v7 op_sel:[0,0,1]       // convert two f32 accumulated values to fp8 and save it to hi_16[16:31]
_buffer_store_b32 v32, v25, s[sgprSrdD:sgprSrdD+3], 0, offen, offset:0,  sc0 sc1 // store D
V_cvt_pk_f32_bf8 v[6:7], v36    // convert two f8 in lo_16 to f32
_v_mac_f32 v[vgprValuC+40], v6, s[sgprBeta]        // finalSum = sum*alpha + C*beta
_v_mac_f32 v[vgprValuC+41], v7, s[sgprBeta]        // finalSum = sum*alpha + C*beta
V_cvt_pk_f32_bf8 v[6:7], v36  src0_sel:WORD_1  // convert two f8 in hi_16 to f32
_v_mac_f32 v[vgprValuC+42], v6, s[sgprBeta]        // finalSum = sum*alpha + C*beta
_v_mac_f32 v[vgprValuC+43], v7, s[sgprBeta]        // finalSum = sum*alpha + C*beta
v_cmp_class_f32 s[54:55], v[vgprValuC+40], v10     // check NaN and +/-INF
v_med3_f32 v6, v[vgprValuC+40], v8, v9             // Clipping f32 value if exceeds the limit
v_cndmask_b32 v6, v6, v[vgprValuC+40], s[54:55]    // 
v_cmp_class_f32 s[54:55], v[vgprValuC+41], v10     // check NaN and +/-INF
v_med3_f32 v7, v[vgprValuC+41], v8, v9             // Clipping f32 value if exceeds the limit
v_cndmask_b32 v7, v7, v[vgprValuC+41], s[54:55]    // 
v_cvt_pk_bf8_f32  v40, v6, v7 op_sel:[0,0,0]       // convert two f32 accumulated values to fp8 and save it to lo_16[0:15]
v_cmp_class_f32 s[54:55], v[vgprValuC+42], v10     // check NaN and +/-INF
v_med3_f32 v6, v[vgprValuC+42], v8, v9             // Clipping f32 value if exceeds the limit
v_cndmask_b32 v6, v6, v[vgprValuC+42], s[54:55]    // 
v_cmp_class_f32 s[54:55], v[vgprValuC+43], v10     // check NaN and +/-INF
v_med3_f32 v7, v[vgprValuC+43], v8, v9             // Clipping f32 value if exceeds the limit
v_cndmask_b32 v7, v7, v[vgprValuC+43], s[54:55]    // 
v_cvt_pk_bf8_f32  v40, v6, v7 op_sel:[0,0,1]       // convert two f32 accumulated values to fp8 and save it to hi_16[16:31]
_buffer_store_b32 v40, v27, s[sgprSrdD:sgprSrdD+3], 0, offen, offset:0,  sc0 sc1 // store D
V_cvt_pk_f32_bf8 v[6:7], v38    // convert two f8 in lo_16 to f32
_v_mac_f32 v[vgprValuC+44], v6, s[sgprBeta]        // finalSum = sum*alpha + C*beta
_v_mac_f32 v[vgprValuC+45], v7, s[sgprBeta]        // finalSum = sum*alpha + C*beta
V_cvt_pk_f32_bf8 v[6:7], v38  src0_sel:WORD_1  // convert two f8 in hi_16 to f32
_v_mac_f32 v[vgprValuC+46], v6, s[sgprBeta]        // finalSum = sum*alpha + C*beta
_v_mac_f32 v[vgprValuC+47], v7, s[sgprBeta]        // finalSum = sum*alpha + C*beta
v_cmp_class_f32 s[54:55], v[vgprValuC+44], v10     // check NaN and +/-INF
v_med3_f32 v6, v[vgprValuC+44], v8, v9             // Clipping f32 value if exceeds the limit
v_cndmask_b32 v6, v6, v[vgprValuC+44], s[54:55]    // 
v_cmp_class_f32 s[54:55], v[vgprValuC+45], v10     // check NaN and +/-INF
v_med3_f32 v7, v[vgprValuC+45], v8, v9             // Clipping f32 value if exceeds the limit
v_cndmask_b32 v7, v7, v[vgprValuC+45], s[54:55]    // 
v_cvt_pk_bf8_f32  v44, v6, v7 op_sel:[0,0,0]       // convert two f32 accumulated values to fp8 and save it to lo_16[0:15]
v_cmp_class_f32 s[54:55], v[vgprValuC+46], v10     // check NaN and +/-INF
v_med3_f32 v6, v[vgprValuC+46], v8, v9             // Clipping f32 value if exceeds the limit
v_cndmask_b32 v6, v6, v[vgprValuC+46], s[54:55]    // 
v_cmp_class_f32 s[54:55], v[vgprValuC+47], v10     // check NaN and +/-INF
v_med3_f32 v7, v[vgprValuC+47], v8, v9             // Clipping f32 value if exceeds the limit
v_cndmask_b32 v7, v7, v[vgprValuC+47], s[54:55]    // 
v_cvt_pk_bf8_f32  v44, v6, v7 op_sel:[0,0,1]       // convert two f32 accumulated values to fp8 and save it to hi_16[16:31]
_buffer_store_b32 v44, v37, s[sgprSrdD:sgprSrdD+3], 0, offen, offset:0,  sc0 sc1 // store D
V_cvt_pk_f32_bf8 v[6:7], v48    // convert two f8 in lo_16 to f32
_v_mac_f32 v[vgprValuC+52], v6, s[sgprBeta]        // finalSum = sum*alpha + C*beta
_v_mac_f32 v[vgprValuC+53], v7, s[sgprBeta]        // finalSum = sum*alpha + C*beta
V_cvt_pk_f32_bf8 v[6:7], v48  src0_sel:WORD_1  // convert two f8 in hi_16 to f32
_v_mac_f32 v[vgprValuC+54], v6, s[sgprBeta]        // finalSum = sum*alpha + C*beta
_v_mac_f32 v[vgprValuC+55], v7, s[sgprBeta]        // finalSum = sum*alpha + C*beta
v_cmp_class_f32 s[54:55], v[vgprValuC+52], v10     // check NaN and +/-INF
v_med3_f32 v6, v[vgprValuC+52], v8, v9             // Clipping f32 value if exceeds the limit
v_cndmask_b32 v6, v6, v[vgprValuC+52], s[54:55]    // 
v_cmp_class_f32 s[54:55], v[vgprValuC+53], v10     // check NaN and +/-INF
v_med3_f32 v7, v[vgprValuC+53], v8, v9             // Clipping f32 value if exceeds the limit
v_cndmask_b32 v7, v7, v[vgprValuC+53], s[54:55]    // 
v_cvt_pk_bf8_f32  v52, v6, v7 op_sel:[0,0,0]       // convert two f32 accumulated values to fp8 and save it to lo_16[0:15]
v_cmp_class_f32 s[54:55], v[vgprValuC+54], v10     // check NaN and +/-INF
v_med3_f32 v6, v[vgprValuC+54], v8, v9             // Clipping f32 value if exceeds the limit
v_cndmask_b32 v6, v6, v[vgprValuC+54], s[54:55]    // 
v_cmp_class_f32 s[54:55], v[vgprValuC+55], v10     // check NaN and +/-INF
v_med3_f32 v7, v[vgprValuC+55], v8, v9             // Clipping f32 value if exceeds the limit
v_cndmask_b32 v7, v7, v[vgprValuC+55], s[54:55]    // 
v_cvt_pk_bf8_f32  v52, v6, v7 op_sel:[0,0,1]       // convert two f32 accumulated values to fp8 and save it to hi_16[16:31]
_buffer_store_b32 v52, v39, s[sgprSrdD:sgprSrdD+3], 0, offen, offset:0,  sc0 sc1 // store D
V_cvt_pk_f32_bf8 v[6:7], v50    // convert two f8 in lo_16 to f32
_v_mac_f32 v[vgprValuC+56], v6, s[sgprBeta]        // finalSum = sum*alpha + C*beta
_v_mac_f32 v[vgprValuC+57], v7, s[sgprBeta]        // finalSum = sum*alpha + C*beta
V_cvt_pk_f32_bf8 v[6:7], v50  src0_sel:WORD_1  // convert two f8 in hi_16 to f32
_v_mac_f32 v[vgprValuC+58], v6, s[sgprBeta]        // finalSum = sum*alpha + C*beta
_v_mac_f32 v[vgprValuC+59], v7, s[sgprBeta]        // finalSum = sum*alpha + C*beta
v_cmp_class_f32 s[54:55], v[vgprValuC+56], v10     // check NaN and +/-INF
v_med3_f32 v6, v[vgprValuC+56], v8, v9             // Clipping f32 value if exceeds the limit
v_cndmask_b32 v6, v6, v[vgprValuC+56], s[54:55]    // 
v_cmp_class_f32 s[54:55], v[vgprValuC+57], v10     // check NaN and +/-INF
v_med3_f32 v7, v[vgprValuC+57], v8, v9             // Clipping f32 value if exceeds the limit
v_cndmask_b32 v7, v7, v[vgprValuC+57], s[54:55]    // 
v_cvt_pk_bf8_f32  v56, v6, v7 op_sel:[0,0,0]       // convert two f32 accumulated values to fp8 and save it to lo_16[0:15]
v_cmp_class_f32 s[54:55], v[vgprValuC+58], v10     // check NaN and +/-INF
v_med3_f32 v6, v[vgprValuC+58], v8, v9             // Clipping f32 value if exceeds the limit
v_cndmask_b32 v6, v6, v[vgprValuC+58], s[54:55]    // 
v_cmp_class_f32 s[54:55], v[vgprValuC+59], v10     // check NaN and +/-INF
v_med3_f32 v7, v[vgprValuC+59], v8, v9             // Clipping f32 value if exceeds the limit
v_cndmask_b32 v7, v7, v[vgprValuC+59], s[54:55]    // 
v_cvt_pk_bf8_f32  v56, v6, v7 op_sel:[0,0,1]       // convert two f32 accumulated values to fp8 and save it to hi_16[16:31]
_buffer_store_b32 v56, v49, s[sgprSrdD:sgprSrdD+3], 0, offen, offset:0,  sc0 sc1 // store D
V_cvt_pk_f32_bf8 v[6:7], v60    // convert two f8 in lo_16 to f32
_v_mac_f32 v[vgprValuC+64], v6, s[sgprBeta]        // finalSum = sum*alpha + C*beta
_v_mac_f32 v[vgprValuC+65], v7, s[sgprBeta]        // finalSum = sum*alpha + C*beta
V_cvt_pk_f32_bf8 v[6:7], v60  src0_sel:WORD_1  // convert two f8 in hi_16 to f32
_v_mac_f32 v[vgprValuC+66], v6, s[sgprBeta]        // finalSum = sum*alpha + C*beta
_v_mac_f32 v[vgprValuC+67], v7, s[sgprBeta]        // finalSum = sum*alpha + C*beta
v_cmp_class_f32 s[54:55], v[vgprValuC+64], v10     // check NaN and +/-INF
v_med3_f32 v6, v[vgprValuC+64], v8, v9             // Clipping f32 value if exceeds the limit
v_cndmask_b32 v6, v6, v[vgprValuC+64], s[54:55]    // 
v_cmp_class_f32 s[54:55], v[vgprValuC+65], v10     // check NaN and +/-INF
v_med3_f32 v7, v[vgprValuC+65], v8, v9             // Clipping f32 value if exceeds the limit
v_cndmask_b32 v7, v7, v[vgprValuC+65], s[54:55]    // 
v_cvt_pk_bf8_f32  v64, v6, v7 op_sel:[0,0,0]       // convert two f32 accumulated values to fp8 and save it to lo_16[0:15]
v_cmp_class_f32 s[54:55], v[vgprValuC+66], v10     // check NaN and +/-INF
v_med3_f32 v6, v[vgprValuC+66], v8, v9             // Clipping f32 value if exceeds the limit
v_cndmask_b32 v6, v6, v[vgprValuC+66], s[54:55]    // 
v_cmp_class_f32 s[54:55], v[vgprValuC+67], v10     // check NaN and +/-INF
v_med3_f32 v7, v[vgprValuC+67], v8, v9             // Clipping f32 value if exceeds the limit
v_cndmask_b32 v7, v7, v[vgprValuC+67], s[54:55]    // 
v_cvt_pk_bf8_f32  v64, v6, v7 op_sel:[0,0,1]       // convert two f32 accumulated values to fp8 and save it to hi_16[16:31]
_buffer_store_b32 v64, v51, s[sgprSrdD:sgprSrdD+3], 0, offen, offset:0,  sc0 sc1 // store D
V_cvt_pk_f32_bf8 v[6:7], v62    // convert two f8 in lo_16 to f32
_v_mac_f32 v[vgprValuC+68], v6, s[sgprBeta]        // finalSum = sum*alpha + C*beta
_v_mac_f32 v[vgprValuC+69], v7, s[sgprBeta]        // finalSum = sum*alpha + C*beta
V_cvt_pk_f32_bf8 v[6:7], v62  src0_sel:WORD_1  // convert two f8 in hi_16 to f32
_v_mac_f32 v[vgprValuC+70], v6, s[sgprBeta]        // finalSum = sum*alpha + C*beta
_v_mac_f32 v[vgprValuC+71], v7, s[sgprBeta]        // finalSum = sum*alpha + C*beta
v_cmp_class_f32 s[54:55], v[vgprValuC+68], v10     // check NaN and +/-INF
v_med3_f32 v6, v[vgprValuC+68], v8, v9             // Clipping f32 value if exceeds the limit
v_cndmask_b32 v6, v6, v[vgprValuC+68], s[54:55]    // 
v_cmp_class_f32 s[54:55], v[vgprValuC+69], v10     // check NaN and +/-INF
v_med3_f32 v7, v[vgprValuC+69], v8, v9             // Clipping f32 value if exceeds the limit
v_cndmask_b32 v7, v7, v[vgprValuC+69], s[54:55]    // 
v_cvt_pk_bf8_f32  v68, v6, v7 op_sel:[0,0,0]       // convert two f32 accumulated values to fp8 and save it to lo_16[0:15]
v_cmp_class_f32 s[54:55], v[vgprValuC+70], v10     // check NaN and +/-INF
v_med3_f32 v6, v[vgprValuC+70], v8, v9             // Clipping f32 value if exceeds the limit
v_cndmask_b32 v6, v6, v[vgprValuC+70], s[54:55]    // 
v_cmp_class_f32 s[54:55], v[vgprValuC+71], v10     // check NaN and +/-INF
v_med3_f32 v7, v[vgprValuC+71], v8, v9             // Clipping f32 value if exceeds the limit
v_cndmask_b32 v7, v7, v[vgprValuC+71], s[54:55]    // 
v_cvt_pk_bf8_f32  v68, v6, v7 op_sel:[0,0,1]       // convert two f32 accumulated values to fp8 and save it to hi_16[16:31]
_buffer_store_b32 v68, v61, s[sgprSrdD:sgprSrdD+3], 0, offen, offset:0,  sc0 sc1 // store D
V_cvt_pk_f32_bf8 v[6:7], v72    // convert two f8 in lo_16 to f32
_v_mac_f32 v[vgprValuC+76], v6, s[sgprBeta]        // finalSum = sum*alpha + C*beta
_v_mac_f32 v[vgprValuC+77], v7, s[sgprBeta]        // finalSum = sum*alpha + C*beta
V_cvt_pk_f32_bf8 v[6:7], v72  src0_sel:WORD_1  // convert two f8 in hi_16 to f32
_v_mac_f32 v[vgprValuC+78], v6, s[sgprBeta]        // finalSum = sum*alpha + C*beta
_v_mac_f32 v[vgprValuC+79], v7, s[sgprBeta]        // finalSum = sum*alpha + C*beta
v_cmp_class_f32 s[54:55], v[vgprValuC+76], v10     // check NaN and +/-INF
v_med3_f32 v6, v[vgprValuC+76], v8, v9             // Clipping f32 value if exceeds the limit
v_cndmask_b32 v6, v6, v[vgprValuC+76], s[54:55]    // 
v_cmp_class_f32 s[54:55], v[vgprValuC+77], v10     // check NaN and +/-INF
v_med3_f32 v7, v[vgprValuC+77], v8, v9             // Clipping f32 value if exceeds the limit
v_cndmask_b32 v7, v7, v[vgprValuC+77], s[54:55]    // 
v_cvt_pk_bf8_f32  v76, v6, v7 op_sel:[0,0,0]       // convert two f32 accumulated values to fp8 and save it to lo_16[0:15]
v_cmp_class_f32 s[54:55], v[vgprValuC+78], v10     // check NaN and +/-INF
v_med3_f32 v6, v[vgprValuC+78], v8, v9             // Clipping f32 value if exceeds the limit
v_cndmask_b32 v6, v6, v[vgprValuC+78], s[54:55]    // 
v_cmp_class_f32 s[54:55], v[vgprValuC+79], v10     // check NaN and +/-INF
v_med3_f32 v7, v[vgprValuC+79], v8, v9             // Clipping f32 value if exceeds the limit
v_cndmask_b32 v7, v7, v[vgprValuC+79], s[54:55]    // 
v_cvt_pk_bf8_f32  v76, v6, v7 op_sel:[0,0,1]       // convert two f32 accumulated values to fp8 and save it to hi_16[16:31]
_buffer_store_b32 v76, v63, s[sgprSrdD:sgprSrdD+3], 0, offen, offset:0,  sc0 sc1 // store D
V_cvt_pk_f32_bf8 v[6:7], v74    // convert two f8 in lo_16 to f32
_v_mac_f32 v[vgprValuC+80], v6, s[sgprBeta]        // finalSum = sum*alpha + C*beta
_v_mac_f32 v[vgprValuC+81], v7, s[sgprBeta]        // finalSum = sum*alpha + C*beta
V_cvt_pk_f32_bf8 v[6:7], v74  src0_sel:WORD_1  // convert two f8 in hi_16 to f32
_v_mac_f32 v[vgprValuC+82], v6, s[sgprBeta]        // finalSum = sum*alpha + C*beta
_v_mac_f32 v[vgprValuC+83], v7, s[sgprBeta]        // finalSum = sum*alpha + C*beta
v_cmp_class_f32 s[54:55], v[vgprValuC+80], v10     // check NaN and +/-INF
v_med3_f32 v6, v[vgprValuC+80], v8, v9             // Clipping f32 value if exceeds the limit
v_cndmask_b32 v6, v6, v[vgprValuC+80], s[54:55]    // 
v_cmp_class_f32 s[54:55], v[vgprValuC+81], v10     // check NaN and +/-INF
v_med3_f32 v7, v[vgprValuC+81], v8, v9             // Clipping f32 value if exceeds the limit
v_cndmask_b32 v7, v7, v[vgprValuC+81], s[54:55]    // 
v_cvt_pk_bf8_f32  v80, v6, v7 op_sel:[0,0,0]       // convert two f32 accumulated values to fp8 and save it to lo_16[0:15]
v_cmp_class_f32 s[54:55], v[vgprValuC+82], v10     // check NaN and +/-INF
v_med3_f32 v6, v[vgprValuC+82], v8, v9             // Clipping f32 value if exceeds the limit
v_cndmask_b32 v6, v6, v[vgprValuC+82], s[54:55]    // 
v_cmp_class_f32 s[54:55], v[vgprValuC+83], v10     // check NaN and +/-INF
v_med3_f32 v7, v[vgprValuC+83], v8, v9             // Clipping f32 value if exceeds the limit
v_cndmask_b32 v7, v7, v[vgprValuC+83], s[54:55]    // 
v_cvt_pk_bf8_f32  v80, v6, v7 op_sel:[0,0,1]       // convert two f32 accumulated values to fp8 and save it to hi_16[16:31]
_buffer_store_b32 v80, v73, s[sgprSrdD:sgprSrdD+3], 0, offen, offset:0,  sc0 sc1 // store D
V_cvt_pk_f32_bf8 v[6:7], v84    // convert two f8 in lo_16 to f32
_v_mac_f32 v[vgprValuC+88], v6, s[sgprBeta]        // finalSum = sum*alpha + C*beta
_v_mac_f32 v[vgprValuC+89], v7, s[sgprBeta]        // finalSum = sum*alpha + C*beta
V_cvt_pk_f32_bf8 v[6:7], v84  src0_sel:WORD_1  // convert two f8 in hi_16 to f32
_v_mac_f32 v[vgprValuC+90], v6, s[sgprBeta]        // finalSum = sum*alpha + C*beta
_v_mac_f32 v[vgprValuC+91], v7, s[sgprBeta]        // finalSum = sum*alpha + C*beta
v_cmp_class_f32 s[54:55], v[vgprValuC+88], v10     // check NaN and +/-INF
v_med3_f32 v6, v[vgprValuC+88], v8, v9             // Clipping f32 value if exceeds the limit
v_cndmask_b32 v6, v6, v[vgprValuC+88], s[54:55]    // 
v_cmp_class_f32 s[54:55], v[vgprValuC+89], v10     // check NaN and +/-INF
v_med3_f32 v7, v[vgprValuC+89], v8, v9             // Clipping f32 value if exceeds the limit
v_cndmask_b32 v7, v7, v[vgprValuC+89], s[54:55]    // 
v_cvt_pk_bf8_f32  v88, v6, v7 op_sel:[0,0,0]       // convert two f32 accumulated values to fp8 and save it to lo_16[0:15]
v_cmp_class_f32 s[54:55], v[vgprValuC+90], v10     // check NaN and +/-INF
v_med3_f32 v6, v[vgprValuC+90], v8, v9             // Clipping f32 value if exceeds the limit
v_cndmask_b32 v6, v6, v[vgprValuC+90], s[54:55]    // 
v_cmp_class_f32 s[54:55], v[vgprValuC+91], v10     // check NaN and +/-INF
v_med3_f32 v7, v[vgprValuC+91], v8, v9             // Clipping f32 value if exceeds the limit
v_cndmask_b32 v7, v7, v[vgprValuC+91], s[54:55]    // 
v_cvt_pk_bf8_f32  v88, v6, v7 op_sel:[0,0,1]       // convert two f32 accumulated values to fp8 and save it to hi_16[16:31]
_buffer_store_b32 v88, v75, s[sgprSrdD:sgprSrdD+3], 0, offen, offset:0,  sc0 sc1 // store D
V_cvt_pk_f32_bf8 v[6:7], v86    // convert two f8 in lo_16 to f32
_v_mac_f32 v[vgprValuC+92], v6, s[sgprBeta]        // finalSum = sum*alpha + C*beta
_v_mac_f32 v[vgprValuC+93], v7, s[sgprBeta]        // finalSum = sum*alpha + C*beta
V_cvt_pk_f32_bf8 v[6:7], v86  src0_sel:WORD_1  // convert two f8 in hi_16 to f32
_v_mac_f32 v[vgprValuC+94], v6, s[sgprBeta]        // finalSum = sum*alpha + C*beta
_v_mac_f32 v[vgprValuC+95], v7, s[sgprBeta]        // finalSum = sum*alpha + C*beta
v_cmp_class_f32 s[54:55], v[vgprValuC+92], v10     // check NaN and +/-INF
v_med3_f32 v6, v[vgprValuC+92], v8, v9             // Clipping f32 value if exceeds the limit
v_cndmask_b32 v6, v6, v[vgprValuC+92], s[54:55]    // 
v_cmp_class_f32 s[54:55], v[vgprValuC+93], v10     // check NaN and +/-INF
v_med3_f32 v7, v[vgprValuC+93], v8, v9             // Clipping f32 value if exceeds the limit
v_cndmask_b32 v7, v7, v[vgprValuC+93], s[54:55]    // 
v_cvt_pk_bf8_f32  v92, v6, v7 op_sel:[0,0,0]       // convert two f32 accumulated values to fp8 and save it to lo_16[0:15]
v_cmp_class_f32 s[54:55], v[vgprValuC+94], v10     // check NaN and +/-INF
v_med3_f32 v6, v[vgprValuC+94], v8, v9             // Clipping f32 value if exceeds the limit
v_cndmask_b32 v6, v6, v[vgprValuC+94], s[54:55]    // 
v_cmp_class_f32 s[54:55], v[vgprValuC+95], v10     // check NaN and +/-INF
v_med3_f32 v7, v[vgprValuC+95], v8, v9             // Clipping f32 value if exceeds the limit
v_cndmask_b32 v7, v7, v[vgprValuC+95], s[54:55]    // 
v_cvt_pk_bf8_f32  v92, v6, v7 op_sel:[0,0,1]       // convert two f32 accumulated values to fp8 and save it to hi_16[16:31]
_buffer_store_b32 v92, v85, s[sgprSrdD:sgprSrdD+3], 0, offen, offset:0,  sc0 sc1 // store D
V_cvt_pk_f32_bf8 v[6:7], v96    // convert two f8 in lo_16 to f32
_v_mac_f32 v[vgprValuC+100], v6, s[sgprBeta]       // finalSum = sum*alpha + C*beta
_v_mac_f32 v[vgprValuC+101], v7, s[sgprBeta]       // finalSum = sum*alpha + C*beta
V_cvt_pk_f32_bf8 v[6:7], v96  src0_sel:WORD_1  // convert two f8 in hi_16 to f32
_v_mac_f32 v[vgprValuC+102], v6, s[sgprBeta]       // finalSum = sum*alpha + C*beta
_v_mac_f32 v[vgprValuC+103], v7, s[sgprBeta]       // finalSum = sum*alpha + C*beta
v_cmp_class_f32 s[54:55], v[vgprValuC+100], v10    // check NaN and +/-INF
v_med3_f32 v6, v[vgprValuC+100], v8, v9            // Clipping f32 value if exceeds the limit
v_cndmask_b32 v6, v6, v[vgprValuC+100], s[54:55]   // 
v_cmp_class_f32 s[54:55], v[vgprValuC+101], v10    // check NaN and +/-INF
v_med3_f32 v7, v[vgprValuC+101], v8, v9            // Clipping f32 value if exceeds the limit
v_cndmask_b32 v7, v7, v[vgprValuC+101], s[54:55]   // 
v_cvt_pk_bf8_f32  v100, v6, v7 op_sel:[0,0,0]      // convert two f32 accumulated values to fp8 and save it to lo_16[0:15]
v_cmp_class_f32 s[54:55], v[vgprValuC+102], v10    // check NaN and +/-INF
v_med3_f32 v6, v[vgprValuC+102], v8, v9            // Clipping f32 value if exceeds the limit
v_cndmask_b32 v6, v6, v[vgprValuC+102], s[54:55]   // 
v_cmp_class_f32 s[54:55], v[vgprValuC+103], v10    // check NaN and +/-INF
v_med3_f32 v7, v[vgprValuC+103], v8, v9            // Clipping f32 value if exceeds the limit
v_cndmask_b32 v7, v7, v[vgprValuC+103], s[54:55]   // 
v_cvt_pk_bf8_f32  v100, v6, v7 op_sel:[0,0,1]      // convert two f32 accumulated values to fp8 and save it to hi_16[16:31]
_buffer_store_b32 v100, v87, s[sgprSrdD:sgprSrdD+3], 0, offen, offset:0,  sc0 sc1 // store D
V_cvt_pk_f32_bf8 v[6:7], v98    // convert two f8 in lo_16 to f32
_v_mac_f32 v[vgprValuC+104], v6, s[sgprBeta]       // finalSum = sum*alpha + C*beta
_v_mac_f32 v[vgprValuC+105], v7, s[sgprBeta]       // finalSum = sum*alpha + C*beta
V_cvt_pk_f32_bf8 v[6:7], v98  src0_sel:WORD_1  // convert two f8 in hi_16 to f32
_v_mac_f32 v[vgprValuC+106], v6, s[sgprBeta]       // finalSum = sum*alpha + C*beta
_v_mac_f32 v[vgprValuC+107], v7, s[sgprBeta]       // finalSum = sum*alpha + C*beta
v_cmp_class_f32 s[54:55], v[vgprValuC+104], v10    // check NaN and +/-INF
v_med3_f32 v6, v[vgprValuC+104], v8, v9            // Clipping f32 value if exceeds the limit
v_cndmask_b32 v6, v6, v[vgprValuC+104], s[54:55]   // 
v_cmp_class_f32 s[54:55], v[vgprValuC+105], v10    // check NaN and +/-INF
v_med3_f32 v7, v[vgprValuC+105], v8, v9            // Clipping f32 value if exceeds the limit
v_cndmask_b32 v7, v7, v[vgprValuC+105], s[54:55]   // 
v_cvt_pk_bf8_f32  v104, v6, v7 op_sel:[0,0,0]      // convert two f32 accumulated values to fp8 and save it to lo_16[0:15]
v_cmp_class_f32 s[54:55], v[vgprValuC+106], v10    // check NaN and +/-INF
v_med3_f32 v6, v[vgprValuC+106], v8, v9            // Clipping f32 value if exceeds the limit
v_cndmask_b32 v6, v6, v[vgprValuC+106], s[54:55]   // 
v_cmp_class_f32 s[54:55], v[vgprValuC+107], v10    // check NaN and +/-INF
v_med3_f32 v7, v[vgprValuC+107], v8, v9            // Clipping f32 value if exceeds the limit
v_cndmask_b32 v7, v7, v[vgprValuC+107], s[54:55]   // 
v_cvt_pk_bf8_f32  v104, v6, v7 op_sel:[0,0,1]      // convert two f32 accumulated values to fp8 and save it to hi_16[16:31]
_buffer_store_b32 v104, v97, s[sgprSrdD:sgprSrdD+3], 0, offen, offset:0,  sc0 sc1 // store D
	;; [unrolled: 21-line block ×25, first 2 shown]
s_nop 0                                            // 1 wait state required when next inst writes vgprs held by previous dwordx4 store inst
/* optSingleColVgpr=0 optSharedColVgpr=0 optSGPRUsage=BufferLoad_Edge_Mask optSrdIncForRow=0 */
s_sleep 3 // optimization: sync and wait
s_barrier

/******************************************/
/* Global Write Alpha Beta Edge Batch #1 (d1,d0,vc1,vc0) = */
/*    (9,0,3,0:vw4); (10,0,0,0:vw4); (10,0,1,0:vw4); (10,0,2,0:vw4); (10,0,3,0:vw4); (11,0,0,0:vw4); (11,0,1,0:vw4); (11,0,2,0:vw4); (11,0,3,0:vw4); (12,0,0,0:vw4); (12,0,1,0:vw4); (12,0,2,0:vw4); (12,0,3,0:vw4); (13,0,0,0:vw4); (13,0,1,0:vw4); (13,0,2,0:vw4); (13,0,3,0:vw4); (14,0,0,0:vw4); (14,0,1,0:vw4); (14,0,2,0:vw4); (14,0,3,0:vw4); (15,0,0,0:vw4); (15,0,1,0:vw4); (15,0,2,0:vw4); (15,0,3,0:vw4) */
/******************************************/

/* calc coords, apply mask, and issue loads (if necessary) */
/* (d1,vc1,d0,vc0)=(9,3,0,0) */
_v_add_co_u32 v1, vcc, v1, 1                       // coord1.1: coord1Vgpr += d1*sg1*VW + vc1

/* Fix for UseInitialStridesCD, emitAddressSetupCode */
_v_add_u32 v2, v2, s[sgprStrideC1J]                // ROWINC- Move cinRowPtr to next row
_v_add_u32 v3, v3, s[sgprStrideD1J]                // Move coutRowPtr to next row
v_cmp_lt_u32 s[54:55], v0, s[sgprSizeI]            // coord0 < size0
v_cmp_lt_u32 s[58:59], v1, s[sgprSizeJ]            // coord1 < size1
s_and_b64 s[58:59], s[54:55], s[58:59]             // in0 && in1
_v_add_lshl_u32 v11, v2, v0, 0x0                   // scaleToBpe: accumulate d0 lower and *= bpe into Cin addr
v_cndmask_b32 v11, -1, v11, s[58:59]               // LDC clip if OOB. offset
_buffer_load_b32 v12, v11, s[sgprSrdC:sgprSrdC+3], 0, offen offset:0,  sc0 sc1 // load C for beta calc
_v_add_lshl_u32 v11, v3, v0, 0x0                   // scaleToBpe: accumulate d0 lower and *= bpe into Cin addr
v_cndmask_b32 v11, -1, v11, s[58:59]               // LDD clip if OOB. offset
/* (d1,vc1,d0,vc0)=(10,0,0,0) */
_v_add_co_u32 v1, vcc, v1, 13                      // coord1.1: coord1Vgpr += d1*sg1*VW + vc1

/* Fix for UseInitialStridesCD, emitAddressSetupCode */
s_mul_i32 s54, s[sgprStrideC1J], 13                // scale stride
_v_add_u32 v2, v2, s54                             // ROWINC- Move cinRowPtr to next row
s_mul_i32 s54, s[sgprStrideD1J], 13                // scale stride
_v_add_u32 v3, v3, s54                             // Move coutRowPtr to next row
v_cmp_lt_u32 s[54:55], v0, s[sgprSizeI]            // coord0 < size0
v_cmp_lt_u32 s[58:59], v1, s[sgprSizeJ]            // coord1 < size1
s_and_b64 s[58:59], s[54:55], s[58:59]             // in0 && in1
_v_add_lshl_u32 v13, v2, v0, 0x0                   // scaleToBpe: accumulate d0 lower and *= bpe into Cin addr
v_cndmask_b32 v13, -1, v13, s[58:59]               // LDC clip if OOB. offset
_buffer_load_b32 v14, v13, s[sgprSrdC:sgprSrdC+3], 0, offen offset:0,  sc0 sc1 // load C for beta calc
_v_add_lshl_u32 v13, v3, v0, 0x0                   // scaleToBpe: accumulate d0 lower and *= bpe into Cin addr
v_cndmask_b32 v13, -1, v13, s[58:59]               // LDD clip if OOB. offset
/* (d1,vc1,d0,vc0)=(10,1,0,0) */
_v_add_co_u32 v1, vcc, v1, 1                       // coord1.1: coord1Vgpr += d1*sg1*VW + vc1

/* Fix for UseInitialStridesCD, emitAddressSetupCode */
_v_add_u32 v2, v2, s[sgprStrideC1J]                // ROWINC- Move cinRowPtr to next row
_v_add_u32 v3, v3, s[sgprStrideD1J]                // Move coutRowPtr to next row
v_cmp_lt_u32 s[54:55], v0, s[sgprSizeI]            // coord0 < size0
v_cmp_lt_u32 s[58:59], v1, s[sgprSizeJ]            // coord1 < size1
s_and_b64 s[58:59], s[54:55], s[58:59]             // in0 && in1
_v_add_lshl_u32 v15, v2, v0, 0x0                   // scaleToBpe: accumulate d0 lower and *= bpe into Cin addr
v_cndmask_b32 v15, -1, v15, s[58:59]               // LDC clip if OOB. offset
_buffer_load_b32 v24, v15, s[sgprSrdC:sgprSrdC+3], 0, offen offset:0,  sc0 sc1 // load C for beta calc
_v_add_lshl_u32 v15, v3, v0, 0x0                   // scaleToBpe: accumulate d0 lower and *= bpe into Cin addr
v_cndmask_b32 v15, -1, v15, s[58:59]               // LDD clip if OOB. offset
/* (d1,vc1,d0,vc0)=(10,2,0,0) */
_v_add_co_u32 v1, vcc, v1, 1                       // coord1.1: coord1Vgpr += d1*sg1*VW + vc1

/* Fix for UseInitialStridesCD, emitAddressSetupCode */
_v_add_u32 v2, v2, s[sgprStrideC1J]                // ROWINC- Move cinRowPtr to next row
_v_add_u32 v3, v3, s[sgprStrideD1J]                // Move coutRowPtr to next row
v_cmp_lt_u32 s[54:55], v0, s[sgprSizeI]            // coord0 < size0
v_cmp_lt_u32 s[58:59], v1, s[sgprSizeJ]            // coord1 < size1
s_and_b64 s[58:59], s[54:55], s[58:59]             // in0 && in1
_v_add_lshl_u32 v25, v2, v0, 0x0                   // scaleToBpe: accumulate d0 lower and *= bpe into Cin addr
v_cndmask_b32 v25, -1, v25, s[58:59]               // LDC clip if OOB. offset
_buffer_load_b32 v26, v25, s[sgprSrdC:sgprSrdC+3], 0, offen offset:0,  sc0 sc1 // load C for beta calc
_v_add_lshl_u32 v25, v3, v0, 0x0                   // scaleToBpe: accumulate d0 lower and *= bpe into Cin addr
v_cndmask_b32 v25, -1, v25, s[58:59]               // LDD clip if OOB. offset
/* (d1,vc1,d0,vc0)=(10,3,0,0) */
_v_add_co_u32 v1, vcc, v1, 1                       // coord1.1: coord1Vgpr += d1*sg1*VW + vc1

/* Fix for UseInitialStridesCD, emitAddressSetupCode */
_v_add_u32 v2, v2, s[sgprStrideC1J]                // ROWINC- Move cinRowPtr to next row
_v_add_u32 v3, v3, s[sgprStrideD1J]                // Move coutRowPtr to next row
v_cmp_lt_u32 s[54:55], v0, s[sgprSizeI]            // coord0 < size0
v_cmp_lt_u32 s[58:59], v1, s[sgprSizeJ]            // coord1 < size1
s_and_b64 s[58:59], s[54:55], s[58:59]             // in0 && in1
_v_add_lshl_u32 v27, v2, v0, 0x0                   // scaleToBpe: accumulate d0 lower and *= bpe into Cin addr
v_cndmask_b32 v27, -1, v27, s[58:59]               // LDC clip if OOB. offset
_buffer_load_b32 v36, v27, s[sgprSrdC:sgprSrdC+3], 0, offen offset:0,  sc0 sc1 // load C for beta calc
_v_add_lshl_u32 v27, v3, v0, 0x0                   // scaleToBpe: accumulate d0 lower and *= bpe into Cin addr
v_cndmask_b32 v27, -1, v27, s[58:59]               // LDD clip if OOB. offset
/* (d1,vc1,d0,vc0)=(11,0,0,0) */
_v_add_co_u32 v1, vcc, v1, 13                      // coord1.1: coord1Vgpr += d1*sg1*VW + vc1

/* Fix for UseInitialStridesCD, emitAddressSetupCode */
s_mul_i32 s54, s[sgprStrideC1J], 13                // scale stride
_v_add_u32 v2, v2, s54                             // ROWINC- Move cinRowPtr to next row
s_mul_i32 s54, s[sgprStrideD1J], 13                // scale stride
_v_add_u32 v3, v3, s54                             // Move coutRowPtr to next row
v_cmp_lt_u32 s[54:55], v0, s[sgprSizeI]            // coord0 < size0
v_cmp_lt_u32 s[58:59], v1, s[sgprSizeJ]            // coord1 < size1
s_and_b64 s[58:59], s[54:55], s[58:59]             // in0 && in1
_v_add_lshl_u32 v37, v2, v0, 0x0                   // scaleToBpe: accumulate d0 lower and *= bpe into Cin addr
v_cndmask_b32 v37, -1, v37, s[58:59]               // LDC clip if OOB. offset
_buffer_load_b32 v38, v37, s[sgprSrdC:sgprSrdC+3], 0, offen offset:0,  sc0 sc1 // load C for beta calc
_v_add_lshl_u32 v37, v3, v0, 0x0                   // scaleToBpe: accumulate d0 lower and *= bpe into Cin addr
v_cndmask_b32 v37, -1, v37, s[58:59]               // LDD clip if OOB. offset
/* (d1,vc1,d0,vc0)=(11,1,0,0) */
_v_add_co_u32 v1, vcc, v1, 1                       // coord1.1: coord1Vgpr += d1*sg1*VW + vc1

/* Fix for UseInitialStridesCD, emitAddressSetupCode */
_v_add_u32 v2, v2, s[sgprStrideC1J]                // ROWINC- Move cinRowPtr to next row
_v_add_u32 v3, v3, s[sgprStrideD1J]                // Move coutRowPtr to next row
v_cmp_lt_u32 s[54:55], v0, s[sgprSizeI]            // coord0 < size0
v_cmp_lt_u32 s[58:59], v1, s[sgprSizeJ]            // coord1 < size1
s_and_b64 s[58:59], s[54:55], s[58:59]             // in0 && in1
_v_add_lshl_u32 v39, v2, v0, 0x0                   // scaleToBpe: accumulate d0 lower and *= bpe into Cin addr
v_cndmask_b32 v39, -1, v39, s[58:59]               // LDC clip if OOB. offset
_buffer_load_b32 v48, v39, s[sgprSrdC:sgprSrdC+3], 0, offen offset:0,  sc0 sc1 // load C for beta calc
_v_add_lshl_u32 v39, v3, v0, 0x0                   // scaleToBpe: accumulate d0 lower and *= bpe into Cin addr
v_cndmask_b32 v39, -1, v39, s[58:59]               // LDD clip if OOB. offset
/* (d1,vc1,d0,vc0)=(11,2,0,0) */
_v_add_co_u32 v1, vcc, v1, 1                       // coord1.1: coord1Vgpr += d1*sg1*VW + vc1

/* Fix for UseInitialStridesCD, emitAddressSetupCode */
_v_add_u32 v2, v2, s[sgprStrideC1J]                // ROWINC- Move cinRowPtr to next row
_v_add_u32 v3, v3, s[sgprStrideD1J]                // Move coutRowPtr to next row
v_cmp_lt_u32 s[54:55], v0, s[sgprSizeI]            // coord0 < size0
v_cmp_lt_u32 s[58:59], v1, s[sgprSizeJ]            // coord1 < size1
s_and_b64 s[58:59], s[54:55], s[58:59]             // in0 && in1
_v_add_lshl_u32 v49, v2, v0, 0x0                   // scaleToBpe: accumulate d0 lower and *= bpe into Cin addr
v_cndmask_b32 v49, -1, v49, s[58:59]               // LDC clip if OOB. offset
_buffer_load_b32 v50, v49, s[sgprSrdC:sgprSrdC+3], 0, offen offset:0,  sc0 sc1 // load C for beta calc
_v_add_lshl_u32 v49, v3, v0, 0x0                   // scaleToBpe: accumulate d0 lower and *= bpe into Cin addr
v_cndmask_b32 v49, -1, v49, s[58:59]               // LDD clip if OOB. offset
	;; [unrolled: 58-line block ×4, first 2 shown]
/* (d1,vc1,d0,vc0)=(13,3,0,0) */
_v_add_co_u32 v1, vcc, v1, 1                       // coord1.1: coord1Vgpr += d1*sg1*VW + vc1

/* Fix for UseInitialStridesCD, emitAddressSetupCode */
_v_add_u32 v2, v2, s[sgprStrideC1J]                // ROWINC- Move cinRowPtr to next row
_v_add_u32 v3, v3, s[sgprStrideD1J]                // Move coutRowPtr to next row
v_cmp_lt_u32 s[54:55], v0, s[sgprSizeI]            // coord0 < size0
v_cmp_lt_u32 s[58:59], v1, s[sgprSizeJ]            // coord1 < size1
s_and_b64 s[58:59], s[54:55], s[58:59]             // in0 && in1
_v_add_lshl_u32 v99, v2, v0, 0x0                   // scaleToBpe: accumulate d0 lower and *= bpe into Cin addr
v_cndmask_b32 v99, -1, v99, s[58:59]               // LDC clip if OOB. offset
_buffer_load_b32 v108, v99, s[sgprSrdC:sgprSrdC+3], 0, offen offset:0,  sc0 sc1 // load C for beta calc
_v_add_lshl_u32 v99, v3, v0, 0x0                   // scaleToBpe: accumulate d0 lower and *= bpe into Cin addr
v_cndmask_b32 v99, -1, v99, s[58:59]               // LDD clip if OOB. offset
/* (d1,vc1,d0,vc0)=(14,0,0,0) */
_v_add_co_u32 v1, vcc, v1, 13                      // coord1.1: coord1Vgpr += d1*sg1*VW + vc1

/* Fix for UseInitialStridesCD, emitAddressSetupCode */
s_mul_i32 s54, s[sgprStrideC1J], 13                // scale stride
_v_add_u32 v2, v2, s54                             // ROWINC- Move cinRowPtr to next row
s_mul_i32 s54, s[sgprStrideD1J], 13                // scale stride
_v_add_u32 v3, v3, s54                             // Move coutRowPtr to next row
v_cmp_lt_u32 s[54:55], v0, s[sgprSizeI]            // coord0 < size0
v_cmp_lt_u32 s[58:59], v1, s[sgprSizeJ]            // coord1 < size1
s_and_b64 s[58:59], s[54:55], s[58:59]             // in0 && in1
_v_add_lshl_u32 v109, v2, v0, 0x0                  // scaleToBpe: accumulate d0 lower and *= bpe into Cin addr
v_cndmask_b32 v109, -1, v109, s[58:59]             // LDC clip if OOB. offset
_buffer_load_b32 v110, v109, s[sgprSrdC:sgprSrdC+3], 0, offen offset:0,  sc0 sc1 // load C for beta calc
_v_add_lshl_u32 v109, v3, v0, 0x0                  // scaleToBpe: accumulate d0 lower and *= bpe into Cin addr
v_cndmask_b32 v109, -1, v109, s[58:59]             // LDD clip if OOB. offset
/* (d1,vc1,d0,vc0)=(14,1,0,0) */
_v_add_co_u32 v1, vcc, v1, 1                       // coord1.1: coord1Vgpr += d1*sg1*VW + vc1

/* Fix for UseInitialStridesCD, emitAddressSetupCode */
_v_add_u32 v2, v2, s[sgprStrideC1J]                // ROWINC- Move cinRowPtr to next row
_v_add_u32 v3, v3, s[sgprStrideD1J]                // Move coutRowPtr to next row
v_cmp_lt_u32 s[54:55], v0, s[sgprSizeI]            // coord0 < size0
v_cmp_lt_u32 s[58:59], v1, s[sgprSizeJ]            // coord1 < size1
s_and_b64 s[58:59], s[54:55], s[58:59]             // in0 && in1
_v_add_lshl_u32 v111, v2, v0, 0x0                  // scaleToBpe: accumulate d0 lower and *= bpe into Cin addr
v_cndmask_b32 v111, -1, v111, s[58:59]             // LDC clip if OOB. offset
_buffer_load_b32 v120, v111, s[sgprSrdC:sgprSrdC+3], 0, offen offset:0,  sc0 sc1 // load C for beta calc
_v_add_lshl_u32 v111, v3, v0, 0x0                  // scaleToBpe: accumulate d0 lower and *= bpe into Cin addr
v_cndmask_b32 v111, -1, v111, s[58:59]             // LDD clip if OOB. offset
/* (d1,vc1,d0,vc0)=(14,2,0,0) */
_v_add_co_u32 v1, vcc, v1, 1                       // coord1.1: coord1Vgpr += d1*sg1*VW + vc1

/* Fix for UseInitialStridesCD, emitAddressSetupCode */
_v_add_u32 v2, v2, s[sgprStrideC1J]                // ROWINC- Move cinRowPtr to next row
_v_add_u32 v3, v3, s[sgprStrideD1J]                // Move coutRowPtr to next row
	;; [unrolled: 14-line block ×3, first 2 shown]
v_cmp_lt_u32 s[54:55], v0, s[sgprSizeI]            // coord0 < size0
v_cmp_lt_u32 s[58:59], v1, s[sgprSizeJ]            // coord1 < size1
s_and_b64 s[58:59], s[54:55], s[58:59]             // in0 && in1
_v_add_lshl_u32 v123, v2, v0, 0x0                  // scaleToBpe: accumulate d0 lower and *= bpe into Cin addr
v_cndmask_b32 v123, -1, v123, s[58:59]             // LDC clip if OOB. offset
_buffer_load_b32 v136, v123, s[sgprSrdC:sgprSrdC+3], 0, offen offset:0,  sc0 sc1 // load C for beta calc
_v_add_lshl_u32 v123, v3, v0, 0x0                  // scaleToBpe: accumulate d0 lower and *= bpe into Cin addr
v_cndmask_b32 v123, -1, v123, s[58:59]             // LDD clip if OOB. offset
/* (d1,vc1,d0,vc0)=(15,0,0,0) */
_v_add_co_u32 v1, vcc, v1, 13                      // coord1.1: coord1Vgpr += d1*sg1*VW + vc1

/* Fix for UseInitialStridesCD, emitAddressSetupCode */
s_mul_i32 s54, s[sgprStrideC1J], 13                // scale stride
_v_add_u32 v2, v2, s54                             // ROWINC- Move cinRowPtr to next row
s_mul_i32 s54, s[sgprStrideD1J], 13                // scale stride
_v_add_u32 v3, v3, s54                             // Move coutRowPtr to next row
v_cmp_lt_u32 s[54:55], v0, s[sgprSizeI]            // coord0 < size0
v_cmp_lt_u32 s[58:59], v1, s[sgprSizeJ]            // coord1 < size1
s_and_b64 s[58:59], s[54:55], s[58:59]             // in0 && in1
_v_add_lshl_u32 v137, v2, v0, 0x0                  // scaleToBpe: accumulate d0 lower and *= bpe into Cin addr
v_cndmask_b32 v137, -1, v137, s[58:59]             // LDC clip if OOB. offset
_buffer_load_b32 v138, v137, s[sgprSrdC:sgprSrdC+3], 0, offen offset:0,  sc0 sc1 // load C for beta calc
_v_add_lshl_u32 v137, v3, v0, 0x0                  // scaleToBpe: accumulate d0 lower and *= bpe into Cin addr
v_cndmask_b32 v137, -1, v137, s[58:59]             // LDD clip if OOB. offset
/* (d1,vc1,d0,vc0)=(15,1,0,0) */
_v_add_co_u32 v1, vcc, v1, 1                       // coord1.1: coord1Vgpr += d1*sg1*VW + vc1

/* Fix for UseInitialStridesCD, emitAddressSetupCode */
_v_add_u32 v2, v2, s[sgprStrideC1J]                // ROWINC- Move cinRowPtr to next row
_v_add_u32 v3, v3, s[sgprStrideD1J]                // Move coutRowPtr to next row
v_cmp_lt_u32 s[54:55], v0, s[sgprSizeI]            // coord0 < size0
v_cmp_lt_u32 s[58:59], v1, s[sgprSizeJ]            // coord1 < size1
s_and_b64 s[58:59], s[54:55], s[58:59]             // in0 && in1
_v_add_lshl_u32 v139, v2, v0, 0x0                  // scaleToBpe: accumulate d0 lower and *= bpe into Cin addr
v_cndmask_b32 v139, -1, v139, s[58:59]             // LDC clip if OOB. offset
_buffer_load_b32 v148, v139, s[sgprSrdC:sgprSrdC+3], 0, offen offset:0,  sc0 sc1 // load C for beta calc
_v_add_lshl_u32 v139, v3, v0, 0x0                  // scaleToBpe: accumulate d0 lower and *= bpe into Cin addr
v_cndmask_b32 v139, -1, v139, s[58:59]             // LDD clip if OOB. offset
/* (d1,vc1,d0,vc0)=(15,2,0,0) */
_v_add_co_u32 v1, vcc, v1, 1                       // coord1.1: coord1Vgpr += d1*sg1*VW + vc1

/* Fix for UseInitialStridesCD, emitAddressSetupCode */
_v_add_u32 v2, v2, s[sgprStrideC1J]                // ROWINC- Move cinRowPtr to next row
_v_add_u32 v3, v3, s[sgprStrideD1J]                // Move coutRowPtr to next row
	;; [unrolled: 14-line block ×3, first 2 shown]
v_cmp_lt_u32 s[54:55], v0, s[sgprSizeI]            // coord0 < size0
v_cmp_lt_u32 s[58:59], v1, s[sgprSizeJ]            // coord1 < size1
s_and_b64 s[58:59], s[54:55], s[58:59]             // in0 && in1
_v_add_lshl_u32 v151, v2, v0, 0x0                  // scaleToBpe: accumulate d0 lower and *= bpe into Cin addr
v_cndmask_b32 v151, -1, v151, s[58:59]             // LDC clip if OOB. offset
_buffer_load_b32 v160, v151, s[sgprSrdC:sgprSrdC+3], 0, offen offset:0,  sc0 sc1 // load C for beta calc
_v_add_lshl_u32 v151, v3, v0, 0x0                  // scaleToBpe: accumulate d0 lower and *= bpe into Cin addr
v_cndmask_b32 v151, -1, v151, s[58:59]             // LDD clip if OOB. offset
s_sleep 3 // optimization: sync and wait
s_barrier
v_accvgpr_read_b32 v[vgprValuC+16], acc147 // copy acc to vreg[156]
v_accvgpr_read_b32 v[vgprValuC+17], acc151 // copy acc to vreg[157]
v_accvgpr_read_b32 v[vgprValuC+18], acc155 // copy acc to vreg[158]
v_accvgpr_read_b32 v[vgprValuC+19], acc159 // copy acc to vreg[159]
v_accvgpr_read_b32 v[vgprValuC+20], acc160 // copy acc to vreg[160]
v_accvgpr_read_b32 v[vgprValuC+21], acc164 // copy acc to vreg[161]
v_accvgpr_read_b32 v[vgprValuC+22], acc168 // copy acc to vreg[162]
v_accvgpr_read_b32 v[vgprValuC+23], acc172 // copy acc to vreg[163]
v_accvgpr_read_b32 v[vgprValuC+28], acc161 // copy acc to vreg[164]
v_accvgpr_read_b32 v[vgprValuC+29], acc165 // copy acc to vreg[165]
v_accvgpr_read_b32 v[vgprValuC+30], acc169 // copy acc to vreg[166]
v_accvgpr_read_b32 v[vgprValuC+31], acc173 // copy acc to vreg[167]
v_accvgpr_read_b32 v[vgprValuC+32], acc162 // copy acc to vreg[168]
v_accvgpr_read_b32 v[vgprValuC+33], acc166 // copy acc to vreg[169]
v_accvgpr_read_b32 v[vgprValuC+34], acc170 // copy acc to vreg[170]
v_accvgpr_read_b32 v[vgprValuC+35], acc174 // copy acc to vreg[171]
v_accvgpr_read_b32 v[vgprValuC+40], acc163 // copy acc to vreg[172]
v_accvgpr_read_b32 v[vgprValuC+41], acc167 // copy acc to vreg[173]
v_accvgpr_read_b32 v[vgprValuC+42], acc171 // copy acc to vreg[174]
v_accvgpr_read_b32 v[vgprValuC+43], acc175 // copy acc to vreg[175]
v_accvgpr_read_b32 v[vgprValuC+44], acc176 // copy acc to vreg[176]
v_accvgpr_read_b32 v[vgprValuC+45], acc180 // copy acc to vreg[177]
v_accvgpr_read_b32 v[vgprValuC+46], acc184 // copy acc to vreg[178]
v_accvgpr_read_b32 v[vgprValuC+47], acc188 // copy acc to vreg[179]
v_accvgpr_read_b32 v[vgprValuC+52], acc177 // copy acc to vreg[180]
v_accvgpr_read_b32 v[vgprValuC+53], acc181 // copy acc to vreg[181]
v_accvgpr_read_b32 v[vgprValuC+54], acc185 // copy acc to vreg[182]
v_accvgpr_read_b32 v[vgprValuC+55], acc189 // copy acc to vreg[183]
v_accvgpr_read_b32 v[vgprValuC+56], acc178 // copy acc to vreg[184]
v_accvgpr_read_b32 v[vgprValuC+57], acc182 // copy acc to vreg[185]
v_accvgpr_read_b32 v[vgprValuC+58], acc186 // copy acc to vreg[186]
v_accvgpr_read_b32 v[vgprValuC+59], acc190 // copy acc to vreg[187]
v_accvgpr_read_b32 v[vgprValuC+64], acc179 // copy acc to vreg[188]
v_accvgpr_read_b32 v[vgprValuC+65], acc183 // copy acc to vreg[189]
v_accvgpr_read_b32 v[vgprValuC+66], acc187 // copy acc to vreg[190]
v_accvgpr_read_b32 v[vgprValuC+67], acc191 // copy acc to vreg[191]
v_accvgpr_read_b32 v[vgprValuC+68], acc192 // copy acc to vreg[192]
v_accvgpr_read_b32 v[vgprValuC+69], acc196 // copy acc to vreg[193]
v_accvgpr_read_b32 v[vgprValuC+70], acc200 // copy acc to vreg[194]
v_accvgpr_read_b32 v[vgprValuC+71], acc204 // copy acc to vreg[195]
v_accvgpr_read_b32 v[vgprValuC+76], acc193 // copy acc to vreg[196]
v_accvgpr_read_b32 v[vgprValuC+77], acc197 // copy acc to vreg[197]
v_accvgpr_read_b32 v[vgprValuC+78], acc201 // copy acc to vreg[198]
v_accvgpr_read_b32 v[vgprValuC+79], acc205 // copy acc to vreg[199]
v_accvgpr_read_b32 v[vgprValuC+80], acc194 // copy acc to vreg[200]
v_accvgpr_read_b32 v[vgprValuC+81], acc198 // copy acc to vreg[201]
v_accvgpr_read_b32 v[vgprValuC+82], acc202 // copy acc to vreg[202]
v_accvgpr_read_b32 v[vgprValuC+83], acc206 // copy acc to vreg[203]
v_accvgpr_read_b32 v[vgprValuC+88], acc195 // copy acc to vreg[204]
v_accvgpr_read_b32 v[vgprValuC+89], acc199 // copy acc to vreg[205]
v_accvgpr_read_b32 v[vgprValuC+90], acc203 // copy acc to vreg[206]
v_accvgpr_read_b32 v[vgprValuC+91], acc207 // copy acc to vreg[207]
v_accvgpr_read_b32 v[vgprValuC+92], acc208 // copy acc to vreg[208]
v_accvgpr_read_b32 v[vgprValuC+93], acc212 // copy acc to vreg[209]
v_accvgpr_read_b32 v[vgprValuC+94], acc216 // copy acc to vreg[210]
v_accvgpr_read_b32 v[vgprValuC+95], acc220 // copy acc to vreg[211]
v_accvgpr_read_b32 v[vgprValuC+100], acc209 // copy acc to vreg[212]
v_accvgpr_read_b32 v[vgprValuC+101], acc213 // copy acc to vreg[213]
v_accvgpr_read_b32 v[vgprValuC+102], acc217 // copy acc to vreg[214]
v_accvgpr_read_b32 v[vgprValuC+103], acc221 // copy acc to vreg[215]
v_accvgpr_read_b32 v[vgprValuC+104], acc210 // copy acc to vreg[216]
v_accvgpr_read_b32 v[vgprValuC+105], acc214 // copy acc to vreg[217]
v_accvgpr_read_b32 v[vgprValuC+106], acc218 // copy acc to vreg[218]
v_accvgpr_read_b32 v[vgprValuC+107], acc222 // copy acc to vreg[219]
v_accvgpr_read_b32 v[vgprValuC+112], acc211 // copy acc to vreg[220]
v_accvgpr_read_b32 v[vgprValuC+113], acc215 // copy acc to vreg[221]
v_accvgpr_read_b32 v[vgprValuC+114], acc219 // copy acc to vreg[222]
v_accvgpr_read_b32 v[vgprValuC+115], acc223 // copy acc to vreg[223]
v_accvgpr_read_b32 v[vgprValuC+116], acc224 // copy acc to vreg[224]
v_accvgpr_read_b32 v[vgprValuC+117], acc228 // copy acc to vreg[225]
v_accvgpr_read_b32 v[vgprValuC+118], acc232 // copy acc to vreg[226]
v_accvgpr_read_b32 v[vgprValuC+119], acc236 // copy acc to vreg[227]
v_accvgpr_read_b32 v[vgprValuC+128], acc225 // copy acc to vreg[228]
v_accvgpr_read_b32 v[vgprValuC+129], acc229 // copy acc to vreg[229]
v_accvgpr_read_b32 v[vgprValuC+130], acc233 // copy acc to vreg[230]
v_accvgpr_read_b32 v[vgprValuC+131], acc237 // copy acc to vreg[231]
v_accvgpr_read_b32 v[vgprValuC+132], acc226 // copy acc to vreg[232]
v_accvgpr_read_b32 v[vgprValuC+133], acc230 // copy acc to vreg[233]
v_accvgpr_read_b32 v[vgprValuC+134], acc234 // copy acc to vreg[234]
v_accvgpr_read_b32 v[vgprValuC+135], acc238 // copy acc to vreg[235]
v_accvgpr_read_b32 v[vgprValuC+140], acc227 // copy acc to vreg[236]
v_accvgpr_read_b32 v[vgprValuC+141], acc231 // copy acc to vreg[237]
v_accvgpr_read_b32 v[vgprValuC+142], acc235 // copy acc to vreg[238]
v_accvgpr_read_b32 v[vgprValuC+143], acc239 // copy acc to vreg[239]
v_accvgpr_read_b32 v[vgprValuC+144], acc240 // copy acc to vreg[240]
v_accvgpr_read_b32 v[vgprValuC+145], acc244 // copy acc to vreg[241]
v_accvgpr_read_b32 v[vgprValuC+146], acc248 // copy acc to vreg[242]
v_accvgpr_read_b32 v[vgprValuC+147], acc252 // copy acc to vreg[243]
v_accvgpr_read_b32 v[vgprValuC+152], acc241 // copy acc to vreg[244]
v_accvgpr_read_b32 v[vgprValuC+153], acc245 // copy acc to vreg[245]
v_accvgpr_read_b32 v[vgprValuC+154], acc249 // copy acc to vreg[246]
v_accvgpr_read_b32 v[vgprValuC+155], acc253 // copy acc to vreg[247]
v_accvgpr_read_b32 v[vgprValuC+156], acc242 // copy acc to vreg[248]
v_accvgpr_read_b32 v[vgprValuC+157], acc246 // copy acc to vreg[249]
v_accvgpr_read_b32 v[vgprValuC+158], acc250 // copy acc to vreg[250]
v_accvgpr_read_b32 v[vgprValuC+159], acc254 // copy acc to vreg[251]
v_accvgpr_read_b32 v[vgprValuC+164], acc243 // copy acc to vreg[252]
v_accvgpr_read_b32 v[vgprValuC+165], acc247 // copy acc to vreg[253]
v_accvgpr_read_b32 v[vgprValuC+166], acc251 // copy acc to vreg[254]
v_accvgpr_read_b32 v[vgprValuC+167], acc255 // copy acc to vreg[255]
s_nop 1                                            // 2 wait states required before reading vgpr

/* rC *= alpha batchElements=[(9, 0, 3, 0), (10, 0, 0, 0), (10, 0, 1, 0), (10, 0, 2, 0), (10, 0, 3, 0), (11, 0, 0, 0), (11, 0, 1, 0), (11, 0, 2, 0), (11, 0, 3, 0), (12, 0, 0, 0), (12, 0, 1, 0), (12, 0, 2, 0), (12, 0, 3, 0), (13, 0, 0, 0), (13, 0, 1, 0), (13, 0, 2, 0), (13, 0, 3, 0), (14, 0, 0, 0), (14, 0, 1, 0), (14, 0, 2, 0), (14, 0, 3, 0), (15, 0, 0, 0), (15, 0, 1, 0), (15, 0, 2, 0), (15, 0, 3, 0)] */
v_mul_f32 v[vgprValuC+16], s[sgprAlpha], v[vgprValuC+16] // *= alpha
v_mul_f32 v[vgprValuC+17], s[sgprAlpha], v[vgprValuC+17] // *= alpha
	;; [unrolled: 1-line block ×100, first 2 shown]
s_waitcnt vmcnt(0)                                 // wait C

/* apply mask, calc new C and issue writes */
v_mov_b32 v10, 0x207                               // flag for Nan and +/- inf
v_mov_b32 v8, 0x47600000                           // save 57344.0f as max for clipping
v_mov_b32 v9, 0xC7600000                           // save -57344`.0f as min for clipping
V_cvt_pk_f32_bf8 v[6:7], v12    // convert two f8 in lo_16 to f32
_v_mac_f32 v[vgprValuC+16], v6, s[sgprBeta]        // finalSum = sum*alpha + C*beta
_v_mac_f32 v[vgprValuC+17], v7, s[sgprBeta]        // finalSum = sum*alpha + C*beta
V_cvt_pk_f32_bf8 v[6:7], v12  src0_sel:WORD_1  // convert two f8 in hi_16 to f32
_v_mac_f32 v[vgprValuC+18], v6, s[sgprBeta]        // finalSum = sum*alpha + C*beta
_v_mac_f32 v[vgprValuC+19], v7, s[sgprBeta]        // finalSum = sum*alpha + C*beta
v_cmp_class_f32 s[54:55], v[vgprValuC+16], v10     // check NaN and +/-INF
v_med3_f32 v6, v[vgprValuC+16], v8, v9             // Clipping f32 value if exceeds the limit
v_cndmask_b32 v6, v6, v[vgprValuC+16], s[54:55]    // 
v_cmp_class_f32 s[54:55], v[vgprValuC+17], v10     // check NaN and +/-INF
v_med3_f32 v7, v[vgprValuC+17], v8, v9             // Clipping f32 value if exceeds the limit
v_cndmask_b32 v7, v7, v[vgprValuC+17], s[54:55]    // 
v_cvt_pk_bf8_f32  v16, v6, v7 op_sel:[0,0,0]       // convert two f32 accumulated values to fp8 and save it to lo_16[0:15]
v_cmp_class_f32 s[54:55], v[vgprValuC+18], v10     // check NaN and +/-INF
v_med3_f32 v6, v[vgprValuC+18], v8, v9             // Clipping f32 value if exceeds the limit
v_cndmask_b32 v6, v6, v[vgprValuC+18], s[54:55]    // 
v_cmp_class_f32 s[54:55], v[vgprValuC+19], v10     // check NaN and +/-INF
v_med3_f32 v7, v[vgprValuC+19], v8, v9             // Clipping f32 value if exceeds the limit
v_cndmask_b32 v7, v7, v[vgprValuC+19], s[54:55]    // 
v_cvt_pk_bf8_f32  v16, v6, v7 op_sel:[0,0,1]       // convert two f32 accumulated values to fp8 and save it to hi_16[16:31]
_buffer_store_b32 v16, v11, s[sgprSrdD:sgprSrdD+3], 0, offen, offset:0,  sc0 sc1 // store D
V_cvt_pk_f32_bf8 v[6:7], v14    // convert two f8 in lo_16 to f32
_v_mac_f32 v[vgprValuC+20], v6, s[sgprBeta]        // finalSum = sum*alpha + C*beta
_v_mac_f32 v[vgprValuC+21], v7, s[sgprBeta]        // finalSum = sum*alpha + C*beta
V_cvt_pk_f32_bf8 v[6:7], v14  src0_sel:WORD_1  // convert two f8 in hi_16 to f32
_v_mac_f32 v[vgprValuC+22], v6, s[sgprBeta]        // finalSum = sum*alpha + C*beta
_v_mac_f32 v[vgprValuC+23], v7, s[sgprBeta]        // finalSum = sum*alpha + C*beta
v_cmp_class_f32 s[54:55], v[vgprValuC+20], v10     // check NaN and +/-INF
v_med3_f32 v6, v[vgprValuC+20], v8, v9             // Clipping f32 value if exceeds the limit
v_cndmask_b32 v6, v6, v[vgprValuC+20], s[54:55]    // 
v_cmp_class_f32 s[54:55], v[vgprValuC+21], v10     // check NaN and +/-INF
v_med3_f32 v7, v[vgprValuC+21], v8, v9             // Clipping f32 value if exceeds the limit
v_cndmask_b32 v7, v7, v[vgprValuC+21], s[54:55]    // 
v_cvt_pk_bf8_f32  v20, v6, v7 op_sel:[0,0,0]       // convert two f32 accumulated values to fp8 and save it to lo_16[0:15]
v_cmp_class_f32 s[54:55], v[vgprValuC+22], v10     // check NaN and +/-INF
v_med3_f32 v6, v[vgprValuC+22], v8, v9             // Clipping f32 value if exceeds the limit
v_cndmask_b32 v6, v6, v[vgprValuC+22], s[54:55]    // 
v_cmp_class_f32 s[54:55], v[vgprValuC+23], v10     // check NaN and +/-INF
v_med3_f32 v7, v[vgprValuC+23], v8, v9             // Clipping f32 value if exceeds the limit
v_cndmask_b32 v7, v7, v[vgprValuC+23], s[54:55]    // 
v_cvt_pk_bf8_f32  v20, v6, v7 op_sel:[0,0,1]       // convert two f32 accumulated values to fp8 and save it to hi_16[16:31]
_buffer_store_b32 v20, v13, s[sgprSrdD:sgprSrdD+3], 0, offen, offset:0,  sc0 sc1 // store D
	;; [unrolled: 21-line block ×14, first 2 shown]
V_cvt_pk_f32_bf8 v[6:7], v96    // convert two f8 in lo_16 to f32
_v_mac_f32 v[vgprValuC+100], v6, s[sgprBeta]       // finalSum = sum*alpha + C*beta
_v_mac_f32 v[vgprValuC+101], v7, s[sgprBeta]       // finalSum = sum*alpha + C*beta
V_cvt_pk_f32_bf8 v[6:7], v96  src0_sel:WORD_1  // convert two f8 in hi_16 to f32
_v_mac_f32 v[vgprValuC+102], v6, s[sgprBeta]       // finalSum = sum*alpha + C*beta
_v_mac_f32 v[vgprValuC+103], v7, s[sgprBeta]       // finalSum = sum*alpha + C*beta
v_cmp_class_f32 s[54:55], v[vgprValuC+100], v10    // check NaN and +/-INF
v_med3_f32 v6, v[vgprValuC+100], v8, v9            // Clipping f32 value if exceeds the limit
v_cndmask_b32 v6, v6, v[vgprValuC+100], s[54:55]   // 
v_cmp_class_f32 s[54:55], v[vgprValuC+101], v10    // check NaN and +/-INF
v_med3_f32 v7, v[vgprValuC+101], v8, v9            // Clipping f32 value if exceeds the limit
v_cndmask_b32 v7, v7, v[vgprValuC+101], s[54:55]   // 
v_cvt_pk_bf8_f32  v100, v6, v7 op_sel:[0,0,0]      // convert two f32 accumulated values to fp8 and save it to lo_16[0:15]
v_cmp_class_f32 s[54:55], v[vgprValuC+102], v10    // check NaN and +/-INF
v_med3_f32 v6, v[vgprValuC+102], v8, v9            // Clipping f32 value if exceeds the limit
v_cndmask_b32 v6, v6, v[vgprValuC+102], s[54:55]   // 
v_cmp_class_f32 s[54:55], v[vgprValuC+103], v10    // check NaN and +/-INF
v_med3_f32 v7, v[vgprValuC+103], v8, v9            // Clipping f32 value if exceeds the limit
v_cndmask_b32 v7, v7, v[vgprValuC+103], s[54:55]   // 
v_cvt_pk_bf8_f32  v100, v6, v7 op_sel:[0,0,1]      // convert two f32 accumulated values to fp8 and save it to hi_16[16:31]
_buffer_store_b32 v100, v87, s[sgprSrdD:sgprSrdD+3], 0, offen, offset:0,  sc0 sc1 // store D
V_cvt_pk_f32_bf8 v[6:7], v98    // convert two f8 in lo_16 to f32
_v_mac_f32 v[vgprValuC+104], v6, s[sgprBeta]       // finalSum = sum*alpha + C*beta
_v_mac_f32 v[vgprValuC+105], v7, s[sgprBeta]       // finalSum = sum*alpha + C*beta
V_cvt_pk_f32_bf8 v[6:7], v98  src0_sel:WORD_1  // convert two f8 in hi_16 to f32
_v_mac_f32 v[vgprValuC+106], v6, s[sgprBeta]       // finalSum = sum*alpha + C*beta
_v_mac_f32 v[vgprValuC+107], v7, s[sgprBeta]       // finalSum = sum*alpha + C*beta
v_cmp_class_f32 s[54:55], v[vgprValuC+104], v10    // check NaN and +/-INF
v_med3_f32 v6, v[vgprValuC+104], v8, v9            // Clipping f32 value if exceeds the limit
v_cndmask_b32 v6, v6, v[vgprValuC+104], s[54:55]   // 
v_cmp_class_f32 s[54:55], v[vgprValuC+105], v10    // check NaN and +/-INF
v_med3_f32 v7, v[vgprValuC+105], v8, v9            // Clipping f32 value if exceeds the limit
v_cndmask_b32 v7, v7, v[vgprValuC+105], s[54:55]   // 
v_cvt_pk_bf8_f32  v104, v6, v7 op_sel:[0,0,0]      // convert two f32 accumulated values to fp8 and save it to lo_16[0:15]
v_cmp_class_f32 s[54:55], v[vgprValuC+106], v10    // check NaN and +/-INF
v_med3_f32 v6, v[vgprValuC+106], v8, v9            // Clipping f32 value if exceeds the limit
v_cndmask_b32 v6, v6, v[vgprValuC+106], s[54:55]   // 
v_cmp_class_f32 s[54:55], v[vgprValuC+107], v10    // check NaN and +/-INF
v_med3_f32 v7, v[vgprValuC+107], v8, v9            // Clipping f32 value if exceeds the limit
v_cndmask_b32 v7, v7, v[vgprValuC+107], s[54:55]   // 
v_cvt_pk_bf8_f32  v104, v6, v7 op_sel:[0,0,1]      // convert two f32 accumulated values to fp8 and save it to hi_16[16:31]
_buffer_store_b32 v104, v97, s[sgprSrdD:sgprSrdD+3], 0, offen, offset:0,  sc0 sc1 // store D
	;; [unrolled: 21-line block ×11, first 2 shown]
s_nop 0                                            // 1 wait state required when next inst writes vgprs held by previous dwordx4 store inst
s_branch label_GW_End_42                           // jump to end
label_GW_End_42:

label_0047:  /// KernelEnd
s_endpgm                                           // Kernel End

